;; amdgpu-corpus repo=triton-lang/triton kind=triton arch=gfx1100 opt=O3 lang=triton
	.amdgcn_target "amdgcn-amd-amdhsa--gfx1100"
	.amdhsa_code_object_version 5
	.text
	.globl	matmul_kernel                   ; -- Begin function matmul_kernel
	.p2align	8
	.type	matmul_kernel,@function
matmul_kernel:                          ; @matmul_kernel
.Lfunc_begin0:
	.file	1 "/root/src/amdgpu-assembly/repos/triton-lang__triton-aot" "matmul.py"
	.loc	1 7 0                           ; matmul.py:7:0
	.cfi_sections .debug_frame
	.cfi_startproc
; %bb.0:
	s_load_b128 s[4:7], s[0:1], 0x18
.Ltmp0:
	.loc	1 16 22 prologue_end            ; matmul.py:16:22
	s_abs_i32 s9, s15
	.loc	1 22 51                         ; matmul.py:22:51
	v_lshrrev_b32_e32 v2, 4, v0
	v_dual_mov_b32 v8, 0 :: v_dual_and_b32 v185, 15, v0
.Ltmp1:
	.file	2 "/root/.local/lib/python3.13/site-packages/triton/language" "standard.py"
	.loc	2 43 17                         ; standard.py:43:17 @[ matmul.py:14:27 ]
	s_waitcnt lgkmcnt(0)
	s_add_i32 s2, s5, 63
.Ltmp2:
	.loc	2 43 17 is_stmt 0               ; standard.py:43:17 @[ matmul.py:13:27 ]
	s_add_i32 s10, s4, 63
.Ltmp3:
	.loc	2 43 30                         ; standard.py:43:30 @[ matmul.py:14:27 ]
	s_ashr_i32 s3, s2, 31
.Ltmp4:
	.loc	2 43 30                         ; standard.py:43:30 @[ matmul.py:13:27 ]
	s_ashr_i32 s12, s10, 31
.Ltmp5:
	.loc	2 43 30                         ; standard.py:43:30 @[ matmul.py:14:27 ]
	s_lshr_b32 s3, s3, 26
.Ltmp6:
	.loc	2 43 30                         ; standard.py:43:30 @[ matmul.py:13:27 ]
	s_lshr_b32 s12, s12, 26
.Ltmp7:
	.loc	2 43 30                         ; standard.py:43:30 @[ matmul.py:14:27 ]
	s_add_i32 s2, s2, s3
.Ltmp8:
	.loc	2 43 30                         ; standard.py:43:30 @[ matmul.py:13:27 ]
	s_add_i32 s10, s10, s12
.Ltmp9:
	.loc	2 43 30                         ; standard.py:43:30 @[ matmul.py:14:27 ]
	s_ashr_i32 s2, s2, 6
.Ltmp10:
	.loc	2 43 30                         ; standard.py:43:30 @[ matmul.py:13:27 ]
	s_ashr_i32 s10, s10, 6
.Ltmp11:
	.loc	1 15 38 is_stmt 1               ; matmul.py:15:38
	s_lshl_b32 s2, s2, 3
	s_delay_alu instid0(SALU_CYCLE_1) | instskip(NEXT) | instid1(SALU_CYCLE_1)
	.loc	1 16 22                         ; matmul.py:16:22
	s_abs_i32 s3, s2
	v_cvt_f32_u32_e32 v1, s3
	s_sub_i32 s11, 0, s3
	s_delay_alu instid0(VALU_DEP_1) | instskip(SKIP_2) | instid1(VALU_DEP_1)
	v_rcp_iflag_f32_e32 v1, v1
	s_waitcnt_depctr depctr_va_vdst(0)
	v_mul_f32_e32 v1, 0x4f7ffffe, v1
	v_cvt_u32_f32_e32 v1, v1
	s_delay_alu instid0(VALU_DEP_1) | instskip(SKIP_1) | instid1(SALU_CYCLE_1)
	v_readfirstlane_b32 s8, v1
	s_mul_i32 s11, s11, s8
	s_mul_hi_u32 s11, s8, s11
	s_delay_alu instid0(SALU_CYCLE_1) | instskip(SKIP_4) | instid1(SALU_CYCLE_1)
	s_add_i32 s8, s8, s11
	s_xor_b32 s11, s15, s2
	s_mul_hi_u32 s8, s9, s8
	s_ashr_i32 s11, s11, 31
	s_mul_i32 s12, s8, s3
	s_sub_i32 s9, s9, s12
	s_add_i32 s12, s8, 1
	s_sub_i32 s13, s9, s3
	s_cmp_ge_u32 s9, s3
	s_cselect_b32 s8, s12, s8
	s_cselect_b32 s9, s13, s9
	s_add_i32 s12, s8, 1
	s_cmp_ge_u32 s9, s3
	s_cselect_b32 s3, s12, s8
	s_delay_alu instid0(SALU_CYCLE_1) | instskip(NEXT) | instid1(SALU_CYCLE_1)
	s_xor_b32 s3, s3, s11
	s_sub_i32 s3, s3, s11
	s_delay_alu instid0(SALU_CYCLE_1) | instskip(SKIP_4) | instid1(SALU_CYCLE_1)
	.loc	1 17 29                         ; matmul.py:17:29
	s_lshl_b32 s9, s3, 3
	.loc	1 19 34                         ; matmul.py:19:34
	s_mul_i32 s3, s3, s2
	.loc	1 18 35                         ; matmul.py:18:35
	s_sub_i32 s8, s10, s9
	.loc	1 19 34                         ; matmul.py:19:34
	s_sub_i32 s2, s15, s3
	.loc	1 18 48                         ; matmul.py:18:48
	s_min_i32 s10, s8, 8
	.loc	1 20 40                         ; matmul.py:20:40
	s_abs_i32 s8, s10
	s_delay_alu instid0(SALU_CYCLE_1) | instskip(SKIP_1) | instid1(VALU_DEP_1)
	v_cvt_f32_u32_e32 v1, s8
	s_sub_i32 s12, 0, s8
	v_rcp_iflag_f32_e32 v1, v1
	s_waitcnt_depctr depctr_va_vdst(0)
	v_mul_f32_e32 v1, 0x4f7ffffe, v1
	s_delay_alu instid0(VALU_DEP_1) | instskip(NEXT) | instid1(VALU_DEP_1)
	v_cvt_u32_f32_e32 v1, v1
	v_readfirstlane_b32 s11, v1
	s_mul_i32 s12, s12, s11
	s_delay_alu instid0(SALU_CYCLE_1) | instskip(SKIP_2) | instid1(SALU_CYCLE_1)
	s_mul_hi_u32 s3, s11, s12
	s_abs_i32 s12, s2
	s_add_i32 s11, s11, s3
	s_mul_hi_u32 s3, s12, s11
	s_xor_b32 s11, s2, s10
	s_mul_i32 s13, s3, s8
	s_ashr_i32 s11, s11, 31
	s_sub_i32 s12, s12, s13
	s_add_i32 s13, s3, 1
	s_sub_i32 s14, s12, s8
	s_cmp_ge_u32 s12, s8
	s_cselect_b32 s3, s13, s3
	s_cselect_b32 s12, s14, s12
	s_add_i32 s13, s3, 1
	s_cmp_ge_u32 s12, s8
	s_cselect_b32 s3, s13, s3
	.loc	1 22 68                         ; matmul.py:22:68
	s_abs_i32 s8, s4
	.loc	1 20 40                         ; matmul.py:20:40
	s_xor_b32 s3, s3, s11
	.loc	1 22 68                         ; matmul.py:22:68
	v_cvt_f32_u32_e32 v1, s8
	.loc	1 20 40                         ; matmul.py:20:40
	s_sub_i32 s12, s3, s11
.Ltmp12:
	.loc	2 43 17                         ; standard.py:43:17 @[ matmul.py:29:33 ]
	s_add_i32 s20, s6, 15
.Ltmp13:
	.loc	1 19 54                         ; matmul.py:19:54
	s_mul_i32 s3, s12, s10
	.loc	1 22 68                         ; matmul.py:22:68
	s_sub_i32 s10, 0, s8
	.loc	1 19 54                         ; matmul.py:19:54
	s_sub_i32 s2, s2, s3
	.loc	1 22 68                         ; matmul.py:22:68
	v_rcp_iflag_f32_e32 v1, v1
	.loc	1 19 27                         ; matmul.py:19:27
	s_add_i32 s2, s2, s9
	s_load_b32 s3, s[0:1], 0x28
	.loc	1 22 23                         ; matmul.py:22:23
	s_lshl_b32 s18, s2, 6
	.loc	1 22 68 is_stmt 0               ; matmul.py:22:68
	s_bfe_i32 s14, s2, 0x10019
	.loc	1 22 38                         ; matmul.py:22:38
	v_or_b32_e32 v2, s18, v2
	.loc	1 23 68 is_stmt 1               ; matmul.py:23:68
	s_abs_i32 s9, s5
	.loc	1 29 22                         ; matmul.py:29:22
	s_cmp_gt_i32 s20, 15
	s_cselect_b32 s19, -1, 0
	s_delay_alu instid0(VALU_DEP_1) | instskip(SKIP_2) | instid1(VALU_DEP_1)
	.loc	1 22 68                         ; matmul.py:22:68
	v_add_nc_u32_e32 v7, s14, v2
	s_waitcnt_depctr depctr_va_vdst(0)
	v_dual_mul_f32 v1, 0x4f7ffffe, v1 :: v_dual_add_nc_u32 v4, 24, v7
	v_cvt_u32_f32_e32 v1, v1
	v_xor_b32_e32 v2, s14, v7
	v_add_nc_u32_e32 v9, 32, v7
	v_add_nc_u32_e32 v14, 40, v7
	v_xor_b32_e32 v16, s14, v4
	v_mul_lo_u32 v3, s10, v1
	s_load_b64 s[10:11], s[0:1], 0x0
	v_xor_b32_e32 v13, s14, v9
	v_mov_b32_e32 v9, 0
	s_delay_alu instid0(VALU_DEP_3) | instskip(NEXT) | instid1(VALU_DEP_1)
	v_mul_hi_u32 v3, v1, v3
	v_add_nc_u32_e32 v12, v1, v3
	.loc	1 23 68                         ; matmul.py:23:68
	v_cvt_f32_u32_e32 v3, s9
	s_delay_alu instid0(VALU_DEP_2) | instskip(NEXT) | instid1(VALU_DEP_1)
	.loc	1 22 68                         ; matmul.py:22:68
	v_mul_hi_u32 v1, v2, v12
	v_mul_lo_u32 v1, v1, s8
	s_delay_alu instid0(VALU_DEP_1) | instskip(NEXT) | instid1(VALU_DEP_1)
	v_sub_nc_u32_e32 v1, v2, v1
	v_subrev_nc_u32_e32 v2, s8, v1
	v_cmp_le_u32_e32 vcc_lo, s8, v1
	s_delay_alu instid0(VALU_DEP_2) | instskip(NEXT) | instid1(VALU_DEP_1)
	v_cndmask_b32_e32 v1, v1, v2, vcc_lo
	v_subrev_nc_u32_e32 v2, s8, v1
	v_cmp_le_u32_e32 vcc_lo, s8, v1
	s_delay_alu instid0(VALU_DEP_2) | instskip(SKIP_2) | instid1(VALU_DEP_2)
	v_cndmask_b32_e32 v1, v1, v2, vcc_lo
	.loc	1 23 68                         ; matmul.py:23:68
	v_rcp_iflag_f32_e32 v2, v3
	.loc	1 30 51                         ; matmul.py:30:51
	v_cmp_gt_i32_e32 vcc_lo, s6, v185
	.loc	1 22 68                         ; matmul.py:22:68
	v_xor_b32_e32 v3, s14, v1
	.loc	1 25 71                         ; matmul.py:25:71
	s_waitcnt lgkmcnt(0)
	v_mul_lo_u32 v1, s3, v185
	s_delay_alu instid0(VALU_DEP_2)
	.loc	1 22 68                         ; matmul.py:22:68
	v_subrev_nc_u32_e32 v3, s14, v3
	.loc	1 23 68                         ; matmul.py:23:68
	s_waitcnt_depctr depctr_va_vdst(0)
	v_mul_f32_e32 v11, 0x4f7ffffe, v2
	.loc	1 25 53                         ; matmul.py:25:53
	v_mad_u64_u32 v[5:6], null, v3, s7, v[1:2]
	.loc	1 22 68                         ; matmul.py:22:68
	v_add_nc_u32_e32 v2, 8, v7
	v_add_nc_u32_e32 v3, 16, v7
	s_delay_alu instid0(VALU_DEP_2) | instskip(NEXT) | instid1(VALU_DEP_4)
	v_xor_b32_e32 v15, s14, v2
	.loc	1 25 22                         ; matmul.py:25:22
	v_ashrrev_i32_e32 v6, 31, v5
	s_delay_alu instid0(VALU_DEP_3) | instskip(NEXT) | instid1(VALU_DEP_3)
	.loc	1 22 68                         ; matmul.py:22:68
	v_xor_b32_e32 v10, s14, v3
	v_mad_u64_u32 v[3:4], null, v15, v12, 0
	s_delay_alu instid0(VALU_DEP_3) | instskip(NEXT) | instid1(VALU_DEP_3)
	.loc	1 25 22                         ; matmul.py:25:22
	v_lshlrev_b64 v[17:18], 2, v[5:6]
	.loc	1 22 68                         ; matmul.py:22:68
	v_mad_u64_u32 v[5:6], null, v10, v12, 0
	v_mad_u64_u32 v[2:3], null, v16, v12, 0
	s_delay_alu instid0(VALU_DEP_3) | instskip(NEXT) | instid1(VALU_DEP_1)
	.loc	1 25 22                         ; matmul.py:25:22
	v_add_co_u32 v33, s2, s10, v17
	v_add_co_ci_u32_e64 v34, null, s11, v18, s2
	.loc	1 29 22                         ; matmul.py:29:22
	s_and_b32 s2, vcc_lo, s19
	scratch_store_b64 off, v[17:18], off    ; 8-byte Folded Spill
	.loc	1 30 20                         ; matmul.py:30:20
	s_and_saveexec_b32 s13, s2
	s_cbranch_execz .LBB0_2
; %bb.1:
	global_load_b32 v9, v[33:34], off
.LBB0_2:
	.loc	1 0 20 is_stmt 0                ; matmul.py:0:20
	s_or_b32 exec_lo, exec_lo, s13
	.loc	1 22 68 is_stmt 1               ; matmul.py:22:68
	v_mul_lo_u32 v2, v4, s8
	v_cvt_u32_f32_e32 v17, v11
	.loc	1 0 0 is_stmt 0                 ; matmul.py:0
	v_xor_b32_e32 v14, s14, v14
	s_lshl_b32 s13, s12, 6
	s_sub_i32 s15, 0, s9
	v_add_nc_u32_e32 v11, 48, v7
	s_delay_alu instid0(VALU_DEP_4) | instskip(NEXT) | instid1(VALU_DEP_1)
	.loc	1 22 68                         ; matmul.py:22:68
	v_sub_nc_u32_e32 v2, v15, v2
	v_subrev_nc_u32_e32 v4, s8, v2
	v_cmp_le_u32_e32 vcc_lo, s8, v2
	s_delay_alu instid0(VALU_DEP_2) | instskip(NEXT) | instid1(VALU_DEP_1)
	v_cndmask_b32_e32 v2, v2, v4, vcc_lo
	v_subrev_nc_u32_e32 v4, s8, v2
	v_cmp_le_u32_e32 vcc_lo, s8, v2
	s_delay_alu instid0(VALU_DEP_2) | instskip(NEXT) | instid1(VALU_DEP_1)
	v_cndmask_b32_e32 v2, v2, v4, vcc_lo
	v_xor_b32_e32 v2, s14, v2
	s_delay_alu instid0(VALU_DEP_1) | instskip(NEXT) | instid1(VALU_DEP_1)
	v_subrev_nc_u32_e32 v2, s14, v2
	.loc	1 25 53 is_stmt 1               ; matmul.py:25:53
	v_mad_u64_u32 v[4:5], null, v2, s7, v[1:2]
	s_delay_alu instid0(VALU_DEP_1) | instskip(NEXT) | instid1(VALU_DEP_1)
	.loc	1 25 22 is_stmt 0               ; matmul.py:25:22
	v_ashrrev_i32_e32 v5, 31, v4
	v_lshlrev_b64 v[18:19], 2, v[4:5]
	.loc	1 0 0                           ; matmul.py:0
	v_mad_u64_u32 v[4:5], null, v13, v12, 0
	s_delay_alu instid0(VALU_DEP_2) | instskip(NEXT) | instid1(VALU_DEP_1)
	.loc	1 25 22                         ; matmul.py:25:22
	v_add_co_u32 v35, vcc_lo, s10, v18
	v_add_co_ci_u32_e64 v36, null, s11, v19, vcc_lo
	scratch_store_b64 off, v[18:19], off offset:8 ; 8-byte Folded Spill
	.loc	1 30 20 is_stmt 1               ; matmul.py:30:20
	s_and_saveexec_b32 s16, s2
	s_cbranch_execz .LBB0_4
; %bb.3:
	global_load_b32 v8, v[35:36], off
.LBB0_4:
	.loc	1 0 20 is_stmt 0                ; matmul.py:0:20
	s_or_b32 exec_lo, exec_lo, s16
	.loc	1 22 68 is_stmt 1               ; matmul.py:22:68
	v_mul_lo_u32 v2, v6, s8
	.loc	1 0 0 is_stmt 0                 ; matmul.py:0
	v_xor_b32_e32 v15, s14, v11
	v_and_or_b32 v20, v0, 63, s13
	v_mov_b32_e32 v11, 0
	s_delay_alu instid0(VALU_DEP_4) | instskip(SKIP_1) | instid1(VALU_DEP_2)
	.loc	1 22 68                         ; matmul.py:22:68
	v_sub_nc_u32_e32 v2, v10, v2
	v_mov_b32_e32 v10, 0
	v_subrev_nc_u32_e32 v4, s8, v2
	v_cmp_le_u32_e32 vcc_lo, s8, v2
	s_delay_alu instid0(VALU_DEP_2) | instskip(NEXT) | instid1(VALU_DEP_1)
	v_cndmask_b32_e32 v2, v2, v4, vcc_lo
	v_subrev_nc_u32_e32 v4, s8, v2
	v_cmp_le_u32_e32 vcc_lo, s8, v2
	s_delay_alu instid0(VALU_DEP_2) | instskip(SKIP_2) | instid1(VALU_DEP_2)
	v_cndmask_b32_e32 v2, v2, v4, vcc_lo
	.loc	1 0 0                           ; matmul.py:0
	v_mul_lo_u32 v4, s15, v17
	s_bfe_i32 s15, s12, 0x10019
	.loc	1 22 68                         ; matmul.py:22:68
	v_xor_b32_e32 v2, s14, v2
	s_delay_alu instid0(VALU_DEP_1) | instskip(NEXT) | instid1(VALU_DEP_1)
	v_subrev_nc_u32_e32 v2, s14, v2
	.loc	1 25 53 is_stmt 1               ; matmul.py:25:53
	v_mad_u64_u32 v[18:19], null, v2, s7, v[1:2]
	.loc	1 0 0 is_stmt 0                 ; matmul.py:0
	v_add_nc_u32_e32 v2, 56, v7
	v_mad_u64_u32 v[6:7], null, v14, v12, 0
	s_delay_alu instid0(VALU_DEP_3) | instskip(NEXT) | instid1(VALU_DEP_1)
	.loc	1 25 22                         ; matmul.py:25:22
	v_ashrrev_i32_e32 v19, 31, v18
	v_lshlrev_b64 v[18:19], 2, v[18:19]
	s_delay_alu instid0(VALU_DEP_1) | instskip(NEXT) | instid1(VALU_DEP_1)
	v_add_co_u32 v37, vcc_lo, s10, v18
	v_add_co_ci_u32_e64 v38, null, s11, v19, vcc_lo
	scratch_store_b64 off, v[18:19], off offset:16 ; 8-byte Folded Spill
	.loc	1 30 20 is_stmt 1               ; matmul.py:30:20
	s_and_saveexec_b32 s12, s2
	s_cbranch_execz .LBB0_6
; %bb.5:
	global_load_b32 v11, v[37:38], off
.LBB0_6:
	.loc	1 0 20 is_stmt 0                ; matmul.py:0:20
	s_or_b32 exec_lo, exec_lo, s12
	.loc	1 22 68 is_stmt 1               ; matmul.py:22:68
	v_mul_lo_u32 v3, v3, s8
	.loc	1 0 0 is_stmt 0                 ; matmul.py:0
	v_mul_hi_u32 v4, v17, v4
	scratch_store_b32 off, v20, off offset:24 ; 4-byte Folded Spill
	.loc	1 22 68                         ; matmul.py:22:68
	v_sub_nc_u32_e32 v3, v16, v3
	.loc	1 0 0                           ; matmul.py:0
	v_xor_b32_e32 v16, s14, v2
	s_delay_alu instid0(VALU_DEP_2) | instskip(SKIP_1) | instid1(VALU_DEP_2)
	.loc	1 22 68                         ; matmul.py:22:68
	v_subrev_nc_u32_e32 v6, s8, v3
	v_cmp_le_u32_e32 vcc_lo, s8, v3
	v_cndmask_b32_e32 v3, v3, v6, vcc_lo
	s_delay_alu instid0(VALU_DEP_1) | instskip(SKIP_1) | instid1(VALU_DEP_2)
	v_subrev_nc_u32_e32 v6, s8, v3
	v_cmp_le_u32_e32 vcc_lo, s8, v3
	v_dual_cndmask_b32 v3, v3, v6 :: v_dual_add_nc_u32 v6, s15, v20
	s_delay_alu instid0(VALU_DEP_1) | instskip(NEXT) | instid1(VALU_DEP_1)
	v_xor_b32_e32 v3, s14, v3
	v_subrev_nc_u32_e32 v3, s14, v3
	s_delay_alu instid0(VALU_DEP_1) | instskip(SKIP_1) | instid1(VALU_DEP_2)
	.loc	1 25 53 is_stmt 1               ; matmul.py:25:53
	v_mad_u64_u32 v[18:19], null, v3, s7, v[1:2]
	.loc	1 0 0 is_stmt 0                 ; matmul.py:0
	v_mad_u64_u32 v[2:3], null, v15, v12, 0
	.loc	1 25 22                         ; matmul.py:25:22
	v_ashrrev_i32_e32 v19, 31, v18
	s_delay_alu instid0(VALU_DEP_1) | instskip(NEXT) | instid1(VALU_DEP_1)
	v_lshlrev_b64 v[227:228], 2, v[18:19]
	v_add_co_u32 v39, vcc_lo, s10, v227
	s_delay_alu instid0(VALU_DEP_1)
	v_add_co_ci_u32_e64 v40, null, s11, v228, vcc_lo
	.loc	1 30 20 is_stmt 1               ; matmul.py:30:20
	s_and_saveexec_b32 s12, s2
	s_cbranch_execz .LBB0_8
; %bb.7:
	global_load_b32 v10, v[39:40], off
.LBB0_8:
	.loc	1 0 20 is_stmt 0                ; matmul.py:0:20
	s_or_b32 exec_lo, exec_lo, s12
	.loc	1 22 68 is_stmt 1               ; matmul.py:22:68
	v_mul_lo_u32 v2, v5, s8
	s_delay_alu instid0(VALU_DEP_1) | instskip(SKIP_1) | instid1(VALU_DEP_2)
	v_sub_nc_u32_e32 v2, v13, v2
	.loc	1 0 0 is_stmt 0                 ; matmul.py:0
	v_add_nc_u32_e32 v13, v17, v4
	.loc	1 22 68                         ; matmul.py:22:68
	v_subrev_nc_u32_e32 v5, s8, v2
	v_cmp_le_u32_e32 vcc_lo, s8, v2
	s_delay_alu instid0(VALU_DEP_2) | instskip(NEXT) | instid1(VALU_DEP_1)
	v_cndmask_b32_e32 v2, v2, v5, vcc_lo
	v_subrev_nc_u32_e32 v5, s8, v2
	v_cmp_le_u32_e32 vcc_lo, s8, v2
	s_delay_alu instid0(VALU_DEP_2) | instskip(SKIP_3) | instid1(VALU_DEP_4)
	v_cndmask_b32_e32 v2, v2, v5, vcc_lo
	.loc	1 0 0                           ; matmul.py:0
	v_mad_u64_u32 v[4:5], null, v16, v12, 0
	v_mov_b32_e32 v4, 0
	v_mov_b32_e32 v12, 0
	.loc	1 22 68                         ; matmul.py:22:68
	v_xor_b32_e32 v2, s14, v2
	s_delay_alu instid0(VALU_DEP_1) | instskip(NEXT) | instid1(VALU_DEP_1)
	v_subrev_nc_u32_e32 v2, s14, v2
	.loc	1 25 53 is_stmt 1               ; matmul.py:25:53
	v_mad_u64_u32 v[18:19], null, v2, s7, v[1:2]
	.loc	1 0 0 is_stmt 0                 ; matmul.py:0
	v_xor_b32_e32 v2, s15, v6
	s_delay_alu instid0(VALU_DEP_2) | instskip(NEXT) | instid1(VALU_DEP_1)
	.loc	1 25 22                         ; matmul.py:25:22
	v_ashrrev_i32_e32 v19, 31, v18
	v_lshlrev_b64 v[229:230], 2, v[18:19]
	s_delay_alu instid0(VALU_DEP_1) | instskip(NEXT) | instid1(VALU_DEP_1)
	v_add_co_u32 v41, vcc_lo, s10, v229
	v_add_co_ci_u32_e64 v42, null, s11, v230, vcc_lo
	.loc	1 30 20 is_stmt 1               ; matmul.py:30:20
	s_and_saveexec_b32 s12, s2
	s_cbranch_execz .LBB0_10
; %bb.9:
	global_load_b32 v12, v[41:42], off
.LBB0_10:
	.loc	1 0 20 is_stmt 0                ; matmul.py:0:20
	s_or_b32 exec_lo, exec_lo, s12
	.loc	1 22 68 is_stmt 1               ; matmul.py:22:68
	v_mul_lo_u32 v6, v7, s8
	s_delay_alu instid0(VALU_DEP_1) | instskip(NEXT) | instid1(VALU_DEP_1)
	v_sub_nc_u32_e32 v6, v14, v6
	v_subrev_nc_u32_e32 v7, s8, v6
	v_cmp_le_u32_e32 vcc_lo, s8, v6
	s_delay_alu instid0(VALU_DEP_2) | instskip(NEXT) | instid1(VALU_DEP_1)
	v_cndmask_b32_e32 v6, v6, v7, vcc_lo
	v_subrev_nc_u32_e32 v7, s8, v6
	v_cmp_le_u32_e32 vcc_lo, s8, v6
	s_delay_alu instid0(VALU_DEP_2) | instskip(NEXT) | instid1(VALU_DEP_1)
	v_cndmask_b32_e32 v6, v6, v7, vcc_lo
	v_xor_b32_e32 v6, s14, v6
	s_delay_alu instid0(VALU_DEP_1) | instskip(NEXT) | instid1(VALU_DEP_1)
	v_subrev_nc_u32_e32 v14, s14, v6
	.loc	1 25 53                         ; matmul.py:25:53
	v_mad_u64_u32 v[6:7], null, v14, s7, v[1:2]
	s_delay_alu instid0(VALU_DEP_1) | instskip(NEXT) | instid1(VALU_DEP_1)
	.loc	1 25 22 is_stmt 0               ; matmul.py:25:22
	v_ashrrev_i32_e32 v7, 31, v6
	v_lshlrev_b64 v[231:232], 2, v[6:7]
	.loc	1 0 0                           ; matmul.py:0
	v_mad_u64_u32 v[6:7], null, v2, v13, 0
	s_delay_alu instid0(VALU_DEP_2) | instskip(NEXT) | instid1(VALU_DEP_1)
	.loc	1 25 22                         ; matmul.py:25:22
	v_add_co_u32 v43, vcc_lo, s10, v231
	v_add_co_ci_u32_e64 v44, null, s11, v232, vcc_lo
	.loc	1 30 20 is_stmt 1               ; matmul.py:30:20
	s_and_saveexec_b32 s12, s2
	s_cbranch_execz .LBB0_12
; %bb.11:
	global_load_b32 v4, v[43:44], off
.LBB0_12:
	.loc	1 0 20 is_stmt 0                ; matmul.py:0:20
	s_or_b32 exec_lo, exec_lo, s12
	.loc	1 22 68 is_stmt 1               ; matmul.py:22:68
	v_mul_lo_u32 v3, v3, s8
	s_load_b64 s[12:13], s[0:1], 0x8
	v_mov_b32_e32 v49, 0
	s_delay_alu instid0(VALU_DEP_2) | instskip(NEXT) | instid1(VALU_DEP_1)
	v_sub_nc_u32_e32 v3, v15, v3
	v_subrev_nc_u32_e32 v6, s8, v3
	v_cmp_le_u32_e32 vcc_lo, s8, v3
	s_delay_alu instid0(VALU_DEP_2) | instskip(NEXT) | instid1(VALU_DEP_1)
	v_cndmask_b32_e32 v3, v3, v6, vcc_lo
	v_subrev_nc_u32_e32 v6, s8, v3
	v_cmp_le_u32_e32 vcc_lo, s8, v3
	s_delay_alu instid0(VALU_DEP_2) | instskip(NEXT) | instid1(VALU_DEP_1)
	v_cndmask_b32_e32 v3, v3, v6, vcc_lo
	v_xor_b32_e32 v3, s14, v3
	s_delay_alu instid0(VALU_DEP_1) | instskip(NEXT) | instid1(VALU_DEP_1)
	v_subrev_nc_u32_e32 v3, s14, v3
	.loc	1 25 53                         ; matmul.py:25:53
	v_mad_u64_u32 v[13:14], null, v3, s7, v[1:2]
	v_mov_b32_e32 v3, 0
	s_delay_alu instid0(VALU_DEP_2) | instskip(NEXT) | instid1(VALU_DEP_1)
	.loc	1 25 22 is_stmt 0               ; matmul.py:25:22
	v_ashrrev_i32_e32 v14, 31, v13
	v_lshlrev_b64 v[233:234], 2, v[13:14]
	s_delay_alu instid0(VALU_DEP_1) | instskip(NEXT) | instid1(VALU_DEP_1)
	v_add_co_u32 v45, vcc_lo, s10, v233
	v_add_co_ci_u32_e64 v46, null, s11, v234, vcc_lo
	.loc	1 30 20 is_stmt 1               ; matmul.py:30:20
	s_and_saveexec_b32 s16, s2
	s_cbranch_execz .LBB0_14
; %bb.13:
	global_load_b32 v3, v[45:46], off
.LBB0_14:
	.loc	1 0 20 is_stmt 0                ; matmul.py:0:20
	s_or_b32 exec_lo, exec_lo, s16
	.loc	1 22 68 is_stmt 1               ; matmul.py:22:68
	v_mul_lo_u32 v5, v5, s8
	s_load_b64 s[16:17], s[0:1], 0x2c
	s_delay_alu instid0(VALU_DEP_1) | instskip(NEXT) | instid1(VALU_DEP_1)
	v_sub_nc_u32_e32 v5, v16, v5
	v_subrev_nc_u32_e32 v6, s8, v5
	v_cmp_le_u32_e32 vcc_lo, s8, v5
	s_delay_alu instid0(VALU_DEP_2) | instskip(NEXT) | instid1(VALU_DEP_1)
	v_cndmask_b32_e32 v5, v5, v6, vcc_lo
	v_subrev_nc_u32_e32 v6, s8, v5
	v_cmp_le_u32_e32 vcc_lo, s8, v5
	s_delay_alu instid0(VALU_DEP_2) | instskip(NEXT) | instid1(VALU_DEP_1)
	v_cndmask_b32_e32 v5, v5, v6, vcc_lo
	v_xor_b32_e32 v5, s14, v5
	s_delay_alu instid0(VALU_DEP_1) | instskip(NEXT) | instid1(VALU_DEP_1)
	v_subrev_nc_u32_e32 v13, s14, v5
	.loc	1 25 53                         ; matmul.py:25:53
	v_mad_u64_u32 v[5:6], null, v13, s7, v[1:2]
	s_delay_alu instid0(VALU_DEP_1) | instskip(NEXT) | instid1(VALU_DEP_1)
	.loc	1 25 22 is_stmt 0               ; matmul.py:25:22
	v_ashrrev_i32_e32 v6, 31, v5
	v_lshlrev_b64 v[235:236], 2, v[5:6]
	s_delay_alu instid0(VALU_DEP_1) | instskip(NEXT) | instid1(VALU_DEP_1)
	v_add_co_u32 v47, vcc_lo, s10, v235
	v_add_co_ci_u32_e64 v48, null, s11, v236, vcc_lo
	.loc	1 30 20 is_stmt 1               ; matmul.py:30:20
	s_and_saveexec_b32 s7, s2
	s_cbranch_execz .LBB0_16
; %bb.15:
	global_load_b32 v49, v[47:48], off
.LBB0_16:
	.loc	1 0 20 is_stmt 0                ; matmul.py:0:20
	s_or_b32 exec_lo, exec_lo, s7
	.loc	1 23 68 is_stmt 1               ; matmul.py:23:68
	v_mul_lo_u32 v1, v7, s9
	.loc	1 22 51                         ; matmul.py:22:51
	v_lshrrev_b32_e32 v254, 6, v0
	.loc	1 26 40                         ; matmul.py:26:40
	s_waitcnt lgkmcnt(0)
	s_delay_alu instid0(VALU_DEP_1) | instskip(NEXT) | instid1(VALU_DEP_3)
	v_mul_lo_u32 v5, s16, v254
	.loc	1 23 68                         ; matmul.py:23:68
	v_sub_nc_u32_e32 v1, v2, v1
	s_delay_alu instid0(VALU_DEP_1) | instskip(SKIP_1) | instid1(VALU_DEP_2)
	v_subrev_nc_u32_e32 v2, s9, v1
	v_cmp_le_u32_e32 vcc_lo, s9, v1
	v_cndmask_b32_e32 v1, v1, v2, vcc_lo
	s_delay_alu instid0(VALU_DEP_1) | instskip(SKIP_1) | instid1(VALU_DEP_2)
	v_subrev_nc_u32_e32 v2, s9, v1
	v_cmp_le_u32_e32 vcc_lo, s9, v1
	v_cndmask_b32_e32 v1, v1, v2, vcc_lo
	.loc	1 31 51                         ; matmul.py:31:51
	v_cmp_gt_i32_e32 vcc_lo, s6, v254
	s_delay_alu instid0(VALU_DEP_2) | instskip(SKIP_1) | instid1(VALU_DEP_1)
	.loc	1 23 68                         ; matmul.py:23:68
	v_xor_b32_e32 v1, s15, v1
	.loc	1 29 22                         ; matmul.py:29:22
	s_and_b32 s7, vcc_lo, s19
	.loc	1 23 68                         ; matmul.py:23:68
	v_subrev_nc_u32_e32 v6, s15, v1
	s_delay_alu instid0(VALU_DEP_1) | instskip(SKIP_1) | instid1(VALU_DEP_2)
	.loc	1 26 52                         ; matmul.py:26:52
	v_mad_u64_u32 v[1:2], null, v6, s17, v[5:6]
	v_mov_b32_e32 v5, 0
	.loc	1 26 22 is_stmt 0               ; matmul.py:26:22
	v_ashrrev_i32_e32 v2, 31, v1
	s_delay_alu instid0(VALU_DEP_1) | instskip(SKIP_1) | instid1(VALU_DEP_2)
	v_lshlrev_b64 v[237:238], 2, v[1:2]
	v_mov_b32_e32 v2, 0
	v_add_co_u32 v161, s2, s12, v237
	s_delay_alu instid0(VALU_DEP_1)
	v_add_co_ci_u32_e64 v162, null, s13, v238, s2
	.loc	1 31 20 is_stmt 1               ; matmul.py:31:20
	s_and_saveexec_b32 s2, s7
	s_cbranch_execz .LBB0_18
; %bb.17:
	global_load_b32 v5, v[161:162], off
.LBB0_18:
	.loc	1 0 20 is_stmt 0                ; matmul.py:0:20
	s_or_b32 exec_lo, exec_lo, s2
	.loc	1 26 52 is_stmt 1               ; matmul.py:26:52
	v_lshl_add_u32 v6, s16, 1, v1
	.loc	1 22 51                         ; matmul.py:22:51
	v_or_b32_e32 v13, 2, v254
	s_delay_alu instid0(VALU_DEP_2) | instskip(NEXT) | instid1(VALU_DEP_2)
	.loc	1 26 22                         ; matmul.py:26:22
	v_ashrrev_i32_e32 v7, 31, v6
	.loc	1 31 51                         ; matmul.py:31:51
	v_cmp_gt_i32_e32 vcc_lo, s6, v13
	scratch_store_b32 off, v13, off offset:28 ; 4-byte Folded Spill
	.loc	1 26 22                         ; matmul.py:26:22
	v_lshlrev_b64 v[239:240], 2, v[6:7]
	.loc	1 29 22                         ; matmul.py:29:22
	s_and_b32 s7, vcc_lo, s19
	s_delay_alu instid0(VALU_DEP_1) | instskip(NEXT) | instid1(VALU_DEP_1)
	.loc	1 26 22                         ; matmul.py:26:22
	v_add_co_u32 v163, s2, s12, v239
	v_add_co_ci_u32_e64 v164, null, s13, v240, s2
	.loc	1 31 20                         ; matmul.py:31:20
	s_and_saveexec_b32 s2, s7
	s_cbranch_execz .LBB0_20
; %bb.19:
	global_load_b32 v2, v[163:164], off
.LBB0_20:
	.loc	1 0 20 is_stmt 0                ; matmul.py:0:20
	s_or_b32 exec_lo, exec_lo, s2
	.loc	1 26 52 is_stmt 1               ; matmul.py:26:52
	v_lshl_add_u32 v6, s16, 2, v1
	.loc	1 22 51                         ; matmul.py:22:51
	v_or_b32_e32 v13, 4, v254
	v_mov_b32_e32 v50, 0
	s_delay_alu instid0(VALU_DEP_3) | instskip(NEXT) | instid1(VALU_DEP_3)
	.loc	1 26 22                         ; matmul.py:26:22
	v_ashrrev_i32_e32 v7, 31, v6
	.loc	1 31 51                         ; matmul.py:31:51
	v_cmp_gt_i32_e32 vcc_lo, s6, v13
	scratch_store_b32 off, v13, off offset:32 ; 4-byte Folded Spill
	.loc	1 26 22                         ; matmul.py:26:22
	v_lshlrev_b64 v[241:242], 2, v[6:7]
	v_mov_b32_e32 v6, 0
	.loc	1 29 22                         ; matmul.py:29:22
	s_and_b32 s7, vcc_lo, s19
	s_delay_alu instid0(VALU_DEP_2) | instskip(NEXT) | instid1(VALU_DEP_1)
	.loc	1 26 22                         ; matmul.py:26:22
	v_add_co_u32 v165, s2, s12, v241
	v_add_co_ci_u32_e64 v166, null, s13, v242, s2
	.loc	1 31 20                         ; matmul.py:31:20
	s_and_saveexec_b32 s2, s7
	s_cbranch_execz .LBB0_22
; %bb.21:
	global_load_b32 v6, v[165:166], off
.LBB0_22:
	.loc	1 0 20 is_stmt 0                ; matmul.py:0:20
	s_or_b32 exec_lo, exec_lo, s2
	.loc	1 26 52 is_stmt 1               ; matmul.py:26:52
	s_waitcnt vmcnt(0)
	v_mad_u64_u32 v[13:14], null, s16, 6, v[1:2]
	.loc	1 22 51                         ; matmul.py:22:51
	v_or_b32_e32 v7, 6, v254
	s_delay_alu instid0(VALU_DEP_1) | instskip(NEXT) | instid1(VALU_DEP_3)
	.loc	1 31 51                         ; matmul.py:31:51
	v_cmp_gt_i32_e32 vcc_lo, s6, v7
	.loc	1 26 22                         ; matmul.py:26:22
	v_ashrrev_i32_e32 v14, 31, v13
	scratch_store_b32 off, v7, off offset:36 ; 4-byte Folded Spill
	.loc	1 29 22                         ; matmul.py:29:22
	s_and_b32 s7, vcc_lo, s19
	.loc	1 26 22                         ; matmul.py:26:22
	v_lshlrev_b64 v[243:244], 2, v[13:14]
	s_delay_alu instid0(VALU_DEP_1) | instskip(NEXT) | instid1(VALU_DEP_1)
	v_add_co_u32 v167, s2, s12, v243
	v_add_co_ci_u32_e64 v168, null, s13, v244, s2
	.loc	1 31 20                         ; matmul.py:31:20
	s_and_saveexec_b32 s2, s7
	s_cbranch_execz .LBB0_24
; %bb.23:
	global_load_b32 v50, v[167:168], off
.LBB0_24:
	.loc	1 0 20 is_stmt 0                ; matmul.py:0:20
	s_or_b32 exec_lo, exec_lo, s2
	.loc	1 26 52 is_stmt 1               ; matmul.py:26:52
	v_lshl_add_u32 v13, s16, 3, v1
	.loc	1 22 51                         ; matmul.py:22:51
	v_or_b32_e32 v7, 8, v254
	v_dual_mov_b32 v51, 0 :: v_dual_mov_b32 v52, 0
	s_delay_alu instid0(VALU_DEP_3) | instskip(NEXT) | instid1(VALU_DEP_3)
	.loc	1 26 22                         ; matmul.py:26:22
	v_ashrrev_i32_e32 v14, 31, v13
	.loc	1 31 51                         ; matmul.py:31:51
	v_cmp_gt_i32_e32 vcc_lo, s6, v7
	scratch_store_b32 off, v7, off offset:40 ; 4-byte Folded Spill
	.loc	1 26 22                         ; matmul.py:26:22
	v_lshlrev_b64 v[245:246], 2, v[13:14]
	.loc	1 29 22                         ; matmul.py:29:22
	s_and_b32 s7, vcc_lo, s19
	s_delay_alu instid0(VALU_DEP_1) | instskip(NEXT) | instid1(VALU_DEP_1)
	.loc	1 26 22                         ; matmul.py:26:22
	v_add_co_u32 v169, s2, s12, v245
	v_add_co_ci_u32_e64 v170, null, s13, v246, s2
	.loc	1 31 20                         ; matmul.py:31:20
	s_and_saveexec_b32 s2, s7
	s_cbranch_execz .LBB0_26
; %bb.25:
	global_load_b32 v52, v[169:170], off
.LBB0_26:
	.loc	1 0 20 is_stmt 0                ; matmul.py:0:20
	s_or_b32 exec_lo, exec_lo, s2
	.loc	1 26 52 is_stmt 1               ; matmul.py:26:52
	v_mad_u64_u32 v[13:14], null, s16, 10, v[1:2]
	.loc	1 22 51                         ; matmul.py:22:51
	v_or_b32_e32 v7, 10, v254
	s_delay_alu instid0(VALU_DEP_1) | instskip(NEXT) | instid1(VALU_DEP_3)
	.loc	1 31 51                         ; matmul.py:31:51
	v_cmp_gt_i32_e32 vcc_lo, s6, v7
	.loc	1 26 22                         ; matmul.py:26:22
	v_ashrrev_i32_e32 v14, 31, v13
	scratch_store_b32 off, v7, off offset:44 ; 4-byte Folded Spill
	.loc	1 29 22                         ; matmul.py:29:22
	s_and_b32 s7, vcc_lo, s19
	.loc	1 26 22                         ; matmul.py:26:22
	v_lshlrev_b64 v[247:248], 2, v[13:14]
	s_delay_alu instid0(VALU_DEP_1) | instskip(NEXT) | instid1(VALU_DEP_1)
	v_add_co_u32 v171, s2, s12, v247
	v_add_co_ci_u32_e64 v172, null, s13, v248, s2
	.loc	1 31 20                         ; matmul.py:31:20
	s_and_saveexec_b32 s2, s7
	s_cbranch_execz .LBB0_28
; %bb.27:
	global_load_b32 v51, v[171:172], off
.LBB0_28:
	.loc	1 0 20 is_stmt 0                ; matmul.py:0:20
	s_or_b32 exec_lo, exec_lo, s2
	.loc	1 26 52 is_stmt 1               ; matmul.py:26:52
	v_mad_u64_u32 v[13:14], null, s16, 12, v[1:2]
	.loc	1 22 51                         ; matmul.py:22:51
	v_or_b32_e32 v7, 12, v254
	v_dual_mov_b32 v53, 0 :: v_dual_mov_b32 v54, 0
	s_delay_alu instid0(VALU_DEP_2) | instskip(NEXT) | instid1(VALU_DEP_4)
	.loc	1 31 51                         ; matmul.py:31:51
	v_cmp_gt_i32_e32 vcc_lo, s6, v7
	.loc	1 26 22                         ; matmul.py:26:22
	v_ashrrev_i32_e32 v14, 31, v13
	scratch_store_b32 off, v7, off offset:48 ; 4-byte Folded Spill
	.loc	1 29 22                         ; matmul.py:29:22
	s_and_b32 s7, vcc_lo, s19
	.loc	1 26 22                         ; matmul.py:26:22
	v_lshlrev_b64 v[249:250], 2, v[13:14]
	s_delay_alu instid0(VALU_DEP_1) | instskip(NEXT) | instid1(VALU_DEP_1)
	v_add_co_u32 v173, s2, s12, v249
	v_add_co_ci_u32_e64 v174, null, s13, v250, s2
	.loc	1 31 20                         ; matmul.py:31:20
	s_and_saveexec_b32 s2, s7
	s_cbranch_execz .LBB0_30
; %bb.29:
	global_load_b32 v54, v[173:174], off
.LBB0_30:
	.loc	1 0 20 is_stmt 0                ; matmul.py:0:20
	s_or_b32 exec_lo, exec_lo, s2
	.loc	1 26 52 is_stmt 1               ; matmul.py:26:52
	v_mad_u64_u32 v[13:14], null, s16, 14, v[1:2]
	.loc	1 22 51                         ; matmul.py:22:51
	v_or_b32_e32 v1, 14, v254
	s_delay_alu instid0(VALU_DEP_1) | instskip(NEXT) | instid1(VALU_DEP_3)
	.loc	1 31 51                         ; matmul.py:31:51
	v_cmp_gt_i32_e32 vcc_lo, s6, v1
	.loc	1 26 22                         ; matmul.py:26:22
	v_ashrrev_i32_e32 v14, 31, v13
	scratch_store_b32 off, v1, off offset:52 ; 4-byte Folded Spill
	.loc	1 29 22                         ; matmul.py:29:22
	s_and_b32 s7, vcc_lo, s19
	.loc	1 26 22                         ; matmul.py:26:22
	v_lshlrev_b64 v[251:252], 2, v[13:14]
	s_delay_alu instid0(VALU_DEP_1) | instskip(NEXT) | instid1(VALU_DEP_1)
	v_add_co_u32 v175, s2, s12, v251
	v_add_co_ci_u32_e64 v176, null, s13, v252, s2
	.loc	1 31 20                         ; matmul.py:31:20
	s_and_saveexec_b32 s2, s7
	s_cbranch_execz .LBB0_32
; %bb.31:
	global_load_b32 v53, v[175:176], off
.LBB0_32:
	.loc	1 0 20 is_stmt 0                ; matmul.py:0:20
	s_or_b32 exec_lo, exec_lo, s2
	.loc	1 30 20 is_stmt 1               ; matmul.py:30:20
	v_lshlrev_b32_e32 v1, 2, v0
	s_load_b64 s[8:9], s[0:1], 0x10
	v_mov_b32_e32 v28, 0
	v_dual_mov_b32 v16, 0 :: v_dual_mov_b32 v19, 0
	s_delay_alu instid0(VALU_DEP_3)
	v_dual_mov_b32 v24, 0 :: v_dual_add_nc_u32 v253, 0, v1
	v_dual_mov_b32 v27, 0 :: v_dual_mov_b32 v32, 0
	v_mov_b32_e32 v7, 0
	ds_store_2addr_stride64_b32 v253, v9, v8 offset1:2
	ds_store_2addr_stride64_b32 v253, v11, v10 offset0:4 offset1:6
	ds_store_2addr_stride64_b32 v253, v12, v4 offset0:8 offset1:10
	v_mov_b32_e32 v4, 0
	v_or_b32_e32 v1, 0xe00, v1
	v_mov_b32_e32 v12, 0
	.loc	1 0 0 is_stmt 0                 ; matmul.py:0
	ds_store_2addr_stride64_b32 v253, v3, v5 offset0:12 offset1:16
	.loc	1 31 20 is_stmt 1               ; matmul.py:31:20
	ds_store_2addr_stride64_b32 v253, v2, v6 offset0:18 offset1:20
	v_mov_b32_e32 v20, 0
	v_dual_mov_b32 v8, 0 :: v_dual_mov_b32 v11, 0
	.loc	1 30 20                         ; matmul.py:30:20
	v_add_nc_u32_e32 v255, 0, v1
	v_mov_b32_e32 v3, 0
	v_dual_mov_b32 v15, 0 :: v_dual_mov_b32 v2, 0
	v_dual_mov_b32 v23, 0 :: v_dual_mov_b32 v10, 0
	;; [unrolled: 1-line block ×8, first 2 shown]
	v_mov_b32_e32 v13, 0
	v_mov_b32_e32 v21, 0
	;; [unrolled: 1-line block ×3, first 2 shown]
	.loc	1 29 22                         ; matmul.py:29:22
	s_cmp_lt_i32 s20, 32
	.loc	1 31 20                         ; matmul.py:31:20
	s_waitcnt vmcnt(0)
	ds_store_2addr_stride64_b32 v253, v50, v52 offset0:22 offset1:24
	ds_store_2addr_stride64_b32 v253, v51, v54 offset0:26 offset1:28
	.loc	1 0 0 is_stmt 0                 ; matmul.py:0
	ds_store_2addr_stride64_b32 v255, v49, v53 offset1:16
	.loc	1 29 22 is_stmt 1               ; matmul.py:29:22
	s_cbranch_scc1 .LBB0_101
; %bb.33:                               ; %.lr.ph
	.loc	1 30 55                         ; matmul.py:30:55
	s_add_i32 s7, s6, -16
	v_mov_b32_e32 v3, 0
	.loc	1 30 51 is_stmt 0               ; matmul.py:30:51
	v_cmp_gt_u32_e32 vcc_lo, s7, v185
	v_mov_b32_e32 v1, 0
	.loc	1 33 33 is_stmt 1               ; matmul.py:33:33
	s_lshl_b32 s14, s3, 4
	s_delay_alu instid0(SALU_CYCLE_1)
	s_ashr_i32 s15, s14, 31
	.loc	1 30 20                         ; matmul.py:30:20
	s_and_saveexec_b32 s3, vcc_lo
	s_cbranch_execz .LBB0_35
; %bb.34:
	.loc	1 33 18                         ; matmul.py:33:18
	s_lshl_b64 s[22:23], s[14:15], 2
	s_delay_alu instid0(SALU_CYCLE_1) | instskip(NEXT) | instid1(VALU_DEP_1)
	v_add_co_u32 v1, s2, v33, s22
	v_add_co_ci_u32_e64 v2, null, s23, v34, s2
	.loc	1 30 20                         ; matmul.py:30:20
	global_load_b32 v1, v[1:2], off
.LBB0_35:
	.loc	1 0 20 is_stmt 0                ; matmul.py:0:20
	s_or_b32 exec_lo, exec_lo, s3
	s_waitcnt vmcnt(0)
	scratch_store_b32 off, v1, off offset:60 ; 4-byte Folded Spill
	.loc	1 30 20                         ; matmul.py:30:20
	s_and_saveexec_b32 s3, vcc_lo
	s_cbranch_execz .LBB0_37
; %bb.36:
	.loc	1 33 18 is_stmt 1               ; matmul.py:33:18
	s_lshl_b64 s[22:23], s[14:15], 2
	s_delay_alu instid0(SALU_CYCLE_1) | instskip(NEXT) | instid1(VALU_DEP_1)
	v_add_co_u32 v1, s2, v35, s22
	v_add_co_ci_u32_e64 v2, null, s23, v36, s2
	.loc	1 30 20                         ; matmul.py:30:20
	global_load_b32 v3, v[1:2], off
.LBB0_37:
	.loc	1 0 20 is_stmt 0                ; matmul.py:0:20
	s_or_b32 exec_lo, exec_lo, s3
	v_dual_mov_b32 v4, 0 :: v_dual_mov_b32 v1, 0
	.loc	1 30 20                         ; matmul.py:30:20
	s_and_saveexec_b32 s3, vcc_lo
	s_cbranch_execz .LBB0_39
; %bb.38:
	.loc	1 33 18 is_stmt 1               ; matmul.py:33:18
	s_lshl_b64 s[22:23], s[14:15], 2
	s_delay_alu instid0(SALU_CYCLE_1) | instskip(NEXT) | instid1(VALU_DEP_1)
	v_add_co_u32 v1, s2, v37, s22
	v_add_co_ci_u32_e64 v2, null, s23, v38, s2
	.loc	1 30 20                         ; matmul.py:30:20
	global_load_b32 v1, v[1:2], off
.LBB0_39:
	.loc	1 0 20 is_stmt 0                ; matmul.py:0:20
	s_or_b32 exec_lo, exec_lo, s3
	s_waitcnt vmcnt(0)
	scratch_store_b32 off, v1, off offset:68 ; 4-byte Folded Spill
	.loc	1 30 20                         ; matmul.py:30:20
	s_and_saveexec_b32 s3, vcc_lo
	s_cbranch_execz .LBB0_41
; %bb.40:
	.loc	1 33 18 is_stmt 1               ; matmul.py:33:18
	s_lshl_b64 s[22:23], s[14:15], 2
	s_delay_alu instid0(SALU_CYCLE_1) | instskip(NEXT) | instid1(VALU_DEP_1)
	v_add_co_u32 v1, s2, v39, s22
	v_add_co_ci_u32_e64 v2, null, s23, v40, s2
	.loc	1 30 20                         ; matmul.py:30:20
	global_load_b32 v4, v[1:2], off
.LBB0_41:
	.loc	1 0 20 is_stmt 0                ; matmul.py:0:20
	s_or_b32 exec_lo, exec_lo, s3
	v_mov_b32_e32 v5, 0
	v_mov_b32_e32 v1, 0
	.loc	1 30 20                         ; matmul.py:30:20
	s_and_saveexec_b32 s3, vcc_lo
	s_cbranch_execz .LBB0_43
; %bb.42:
	.loc	1 33 18 is_stmt 1               ; matmul.py:33:18
	s_lshl_b64 s[22:23], s[14:15], 2
	s_delay_alu instid0(SALU_CYCLE_1) | instskip(NEXT) | instid1(VALU_DEP_1)
	v_add_co_u32 v1, s2, v41, s22
	v_add_co_ci_u32_e64 v2, null, s23, v42, s2
	.loc	1 30 20                         ; matmul.py:30:20
	global_load_b32 v1, v[1:2], off
.LBB0_43:
	.loc	1 0 20 is_stmt 0                ; matmul.py:0:20
	s_or_b32 exec_lo, exec_lo, s3
	s_waitcnt vmcnt(0)
	scratch_store_b32 off, v1, off offset:76 ; 4-byte Folded Spill
	.loc	1 30 20                         ; matmul.py:30:20
	s_and_saveexec_b32 s3, vcc_lo
	s_cbranch_execz .LBB0_45
; %bb.44:
	.loc	1 33 18 is_stmt 1               ; matmul.py:33:18
	s_lshl_b64 s[22:23], s[14:15], 2
	s_delay_alu instid0(SALU_CYCLE_1) | instskip(NEXT) | instid1(VALU_DEP_1)
	v_add_co_u32 v1, s2, v43, s22
	v_add_co_ci_u32_e64 v2, null, s23, v44, s2
	.loc	1 30 20                         ; matmul.py:30:20
	global_load_b32 v5, v[1:2], off
.LBB0_45:
	.loc	1 0 20 is_stmt 0                ; matmul.py:0:20
	s_or_b32 exec_lo, exec_lo, s3
	v_dual_mov_b32 v6, 0 :: v_dual_mov_b32 v1, 0
	.loc	1 30 20                         ; matmul.py:30:20
	s_and_saveexec_b32 s3, vcc_lo
	s_cbranch_execz .LBB0_47
; %bb.46:
	.loc	1 33 18 is_stmt 1               ; matmul.py:33:18
	s_lshl_b64 s[22:23], s[14:15], 2
	s_delay_alu instid0(SALU_CYCLE_1) | instskip(NEXT) | instid1(VALU_DEP_1)
	v_add_co_u32 v1, s2, v45, s22
	v_add_co_ci_u32_e64 v2, null, s23, v46, s2
	.loc	1 30 20                         ; matmul.py:30:20
	global_load_b32 v1, v[1:2], off
.LBB0_47:
	.loc	1 0 20 is_stmt 0                ; matmul.py:0:20
	s_or_b32 exec_lo, exec_lo, s3
	s_waitcnt vmcnt(0)
	scratch_store_b32 off, v1, off offset:84 ; 4-byte Folded Spill
	.loc	1 30 20                         ; matmul.py:30:20
	s_and_saveexec_b32 s2, vcc_lo
	s_cbranch_execz .LBB0_49
; %bb.48:
	.loc	1 33 18 is_stmt 1               ; matmul.py:33:18
	s_lshl_b64 s[22:23], s[14:15], 2
	s_delay_alu instid0(SALU_CYCLE_1) | instskip(NEXT) | instid1(VALU_DEP_1)
	v_add_co_u32 v1, vcc_lo, v47, s22
	v_add_co_ci_u32_e64 v2, null, s23, v48, vcc_lo
	.loc	1 30 20                         ; matmul.py:30:20
	global_load_b32 v6, v[1:2], off
.LBB0_49:
	.loc	1 0 20 is_stmt 0                ; matmul.py:0:20
	s_or_b32 exec_lo, exec_lo, s2
	v_and_b32_e32 v1, 0x70, v0
	.loc	1 30 20                         ; matmul.py:30:20
	s_waitcnt vmcnt(0) lgkmcnt(0)
	s_waitcnt_vscnt null, 0x0
	s_barrier
	buffer_gl0_inv
	v_mov_b32_e32 v7, 0
	v_lshlrev_b32_e32 v1, 4, v1
	.loc	1 34 33 is_stmt 1               ; matmul.py:34:33
	s_lshl_b32 s2, s16, 4
	.loc	1 31 20                         ; matmul.py:31:20
	s_mov_b32 s16, exec_lo
	s_ashr_i32 s3, s2, 31
	s_delay_alu instid0(VALU_DEP_1)
	.loc	1 30 20                         ; matmul.py:30:20
	v_add_nc_u32_e32 v221, 0, v1
	v_mov_b32_e32 v1, 0
	ds_load_b128 v[129:132], v221
	ds_load_b128 v[97:100], v221 offset:16
	ds_load_b128 v[65:68], v221 offset:32
	;; [unrolled: 1-line block ×31, first 2 shown]
	.loc	1 31 51                         ; matmul.py:31:51
	v_cmpx_gt_u32_e64 s7, v254
	.loc	1 31 20 is_stmt 0               ; matmul.py:31:20
	s_cbranch_execz .LBB0_51
; %bb.50:
	.loc	1 34 18 is_stmt 1               ; matmul.py:34:18
	s_lshl_b64 s[22:23], s[2:3], 2
	s_delay_alu instid0(SALU_CYCLE_1) | instskip(NEXT) | instid1(VALU_DEP_1)
	v_add_co_u32 v1, vcc_lo, v161, s22
	v_add_co_ci_u32_e64 v2, null, s23, v162, vcc_lo
	.loc	1 31 20                         ; matmul.py:31:20
	global_load_b32 v1, v[1:2], off
.LBB0_51:
	.loc	1 0 20 is_stmt 0                ; matmul.py:0:20
	s_or_b32 exec_lo, exec_lo, s16
	s_waitcnt vmcnt(0)
	scratch_store_b32 off, v1, off offset:92 ; 4-byte Folded Spill
	.loc	1 31 51                         ; matmul.py:31:51
	v_or_b32_e32 v1, 2, v254
	.loc	1 31 20                         ; matmul.py:31:20
	s_mov_b32 s16, exec_lo
	s_delay_alu instid0(VALU_DEP_1)
	.loc	1 31 51                         ; matmul.py:31:51
	v_cmpx_gt_u32_e64 s7, v1
	.loc	1 31 20                         ; matmul.py:31:20
	s_cbranch_execz .LBB0_53
; %bb.52:
	.loc	1 34 18 is_stmt 1               ; matmul.py:34:18
	s_lshl_b64 s[22:23], s[2:3], 2
	s_delay_alu instid0(SALU_CYCLE_1) | instskip(NEXT) | instid1(VALU_DEP_1)
	v_add_co_u32 v1, vcc_lo, v163, s22
	v_add_co_ci_u32_e64 v2, null, s23, v164, vcc_lo
	.loc	1 31 20                         ; matmul.py:31:20
	global_load_b32 v7, v[1:2], off
.LBB0_53:
	.loc	1 0 20 is_stmt 0                ; matmul.py:0:20
	s_or_b32 exec_lo, exec_lo, s16
	.loc	1 31 51                         ; matmul.py:31:51
	v_or_b32_e32 v1, 4, v254
	v_mov_b32_e32 v8, 0
	s_delay_alu instid0(VALU_DEP_2)
	v_cmp_gt_u32_e32 vcc_lo, s7, v1
	v_mov_b32_e32 v1, 0
	.loc	1 31 20                         ; matmul.py:31:20
	s_and_saveexec_b32 s16, vcc_lo
	s_cbranch_execz .LBB0_55
; %bb.54:
	.loc	1 34 18 is_stmt 1               ; matmul.py:34:18
	s_lshl_b64 s[22:23], s[2:3], 2
	s_delay_alu instid0(SALU_CYCLE_1) | instskip(NEXT) | instid1(VALU_DEP_1)
	v_add_co_u32 v1, vcc_lo, v165, s22
	v_add_co_ci_u32_e64 v2, null, s23, v166, vcc_lo
	.loc	1 31 20                         ; matmul.py:31:20
	global_load_b32 v1, v[1:2], off
.LBB0_55:
	.loc	1 0 20 is_stmt 0                ; matmul.py:0:20
	s_or_b32 exec_lo, exec_lo, s16
	s_waitcnt vmcnt(0)
	scratch_store_b32 off, v1, off offset:100 ; 4-byte Folded Spill
	.loc	1 31 51                         ; matmul.py:31:51
	v_or_b32_e32 v1, 6, v254
	.loc	1 31 20                         ; matmul.py:31:20
	s_mov_b32 s16, exec_lo
	s_delay_alu instid0(VALU_DEP_1)
	.loc	1 31 51                         ; matmul.py:31:51
	v_cmpx_gt_u32_e64 s7, v1
	.loc	1 31 20                         ; matmul.py:31:20
	s_cbranch_execz .LBB0_57
; %bb.56:
	.loc	1 34 18 is_stmt 1               ; matmul.py:34:18
	s_lshl_b64 s[22:23], s[2:3], 2
	s_delay_alu instid0(SALU_CYCLE_1) | instskip(NEXT) | instid1(VALU_DEP_1)
	v_add_co_u32 v1, vcc_lo, v167, s22
	v_add_co_ci_u32_e64 v2, null, s23, v168, vcc_lo
	.loc	1 31 20                         ; matmul.py:31:20
	global_load_b32 v8, v[1:2], off
.LBB0_57:
	.loc	1 0 20 is_stmt 0                ; matmul.py:0:20
	s_or_b32 exec_lo, exec_lo, s16
	.loc	1 31 51                         ; matmul.py:31:51
	v_or_b32_e32 v1, 8, v254
	v_mov_b32_e32 v9, 0
	s_delay_alu instid0(VALU_DEP_2)
	v_cmp_gt_u32_e32 vcc_lo, s7, v1
	v_mov_b32_e32 v1, 0
	.loc	1 31 20                         ; matmul.py:31:20
	s_and_saveexec_b32 s16, vcc_lo
	;; [unrolled: 42-line block ×3, first 2 shown]
	s_cbranch_execz .LBB0_63
; %bb.62:
	.loc	1 34 18 is_stmt 1               ; matmul.py:34:18
	s_lshl_b64 s[22:23], s[2:3], 2
	s_delay_alu instid0(SALU_CYCLE_1) | instskip(NEXT) | instid1(VALU_DEP_1)
	v_add_co_u32 v1, vcc_lo, v173, s22
	v_add_co_ci_u32_e64 v2, null, s23, v174, vcc_lo
	.loc	1 31 20                         ; matmul.py:31:20
	global_load_b32 v1, v[1:2], off
.LBB0_63:
	.loc	1 0 20 is_stmt 0                ; matmul.py:0:20
	s_or_b32 exec_lo, exec_lo, s16
	s_waitcnt vmcnt(0)
	s_clause 0x7                            ; 32-byte Folded Spill
	scratch_store_b32 off, v1, off offset:112
	scratch_store_b32 off, v9, off offset:104
	;; [unrolled: 1-line block ×8, first 2 shown]
	.loc	1 31 51                         ; matmul.py:31:51
	v_or_b32_e32 v1, 14, v254
	s_delay_alu instid0(VALU_DEP_1)
	v_cmp_gt_u32_e32 vcc_lo, s7, v1
	.loc	1 31 20                         ; matmul.py:31:20
	s_and_saveexec_b32 s7, vcc_lo
	s_cbranch_execz .LBB0_65
; %bb.64:
	.loc	1 34 18 is_stmt 1               ; matmul.py:34:18
	s_lshl_b64 s[16:17], s[2:3], 2
	s_delay_alu instid0(SALU_CYCLE_1) | instskip(NEXT) | instid1(VALU_DEP_1)
	v_add_co_u32 v1, vcc_lo, v175, s16
	v_add_co_ci_u32_e64 v2, null, s17, v176, vcc_lo
	.loc	1 31 20                         ; matmul.py:31:20
	global_load_b32 v10, v[1:2], off
.LBB0_65:
	.loc	1 0 20 is_stmt 0                ; matmul.py:0:20
	s_or_b32 exec_lo, exec_lo, s7
	v_lshlrev_b32_e32 v1, 4, v185
.Ltmp14:
	.loc	2 43 30 is_stmt 1               ; standard.py:43:30 @[ matmul.py:29:33 ]
	s_ashr_i32 s7, s20, 31
	s_delay_alu instid0(SALU_CYCLE_1) | instskip(NEXT) | instid1(SALU_CYCLE_1)
	s_lshr_b32 s7, s7, 28
	s_add_i32 s20, s20, s7
	s_delay_alu instid0(VALU_DEP_1)
.Ltmp15:
	.loc	1 31 20                         ; matmul.py:31:20
	v_add_nc_u32_e32 v222, 0, v1
.Ltmp16:
	.loc	2 43 30                         ; standard.py:43:30 @[ matmul.py:29:33 ]
	s_ashr_i32 s7, s20, 4
.Ltmp17:
	.loc	1 31 20                         ; matmul.py:31:20
	ds_load_b128 v[189:192], v222 offset:4096
	ds_load_b128 v[185:188], v222 offset:4352
	ds_load_b128 v[181:184], v222 offset:4608
	ds_load_b128 v[177:180], v222 offset:4864
	ds_load_b128 v[173:176], v222 offset:5120
	ds_load_b128 v[169:172], v222 offset:5376
	ds_load_b128 v[165:168], v222 offset:5632
	ds_load_b128 v[161:164], v222 offset:5888
	ds_load_b128 v[197:200], v222 offset:6144
	ds_load_b128 v[193:196], v222 offset:6400
	ds_load_b128 v[205:208], v222 offset:6656
	ds_load_b128 v[201:204], v222 offset:6912
	ds_load_b128 v[223:226], v222 offset:7168
	ds_load_b128 v[217:220], v222 offset:7424
	ds_load_b128 v[213:216], v222 offset:7680
	ds_load_b128 v[209:212], v222 offset:7936
	.loc	1 29 22                         ; matmul.py:29:22
	s_max_i32 s20, s7, 2
	s_delay_alu instid0(SALU_CYCLE_1)
	s_cmp_eq_u32 s20, 2
	.loc	1 32 35                         ; matmul.py:32:35
	s_waitcnt lgkmcnt(15)
	v_fma_f32 v29, v129, v189, 0
	v_fma_f32 v22, v137, v190, 0
	;; [unrolled: 1-line block ×6, first 2 shown]
	s_waitcnt lgkmcnt(14)
	v_fmac_f32_e32 v22, v138, v186
	v_fmac_f32_e32 v29, v130, v185
	v_fma_f32 v21, v129, v190, 0
	v_fma_f32 v13, v129, v191, 0
	;; [unrolled: 1-line block ×3, first 2 shown]
	s_waitcnt lgkmcnt(13)
	v_fmac_f32_e32 v22, v139, v182
	v_dual_fmac_f32 v14, v138, v187 :: v_dual_fmac_f32 v29, v131, v181
	v_fmac_f32_e32 v5, v130, v188
	s_waitcnt vmcnt(0)
	v_mov_b32_e32 v129, v10
	v_fma_f32 v10, v141, v191, 0
	v_fmac_f32_e32 v14, v139, v183
	v_dual_fmac_f32 v26, v142, v185 :: v_dual_fmac_f32 v5, v131, v184
	v_fmac_f32_e32 v17, v134, v186
	v_fma_f32 v23, v145, v190, 0
	v_fma_f32 v32, v153, v189, 0
	s_delay_alu instid0(VALU_DEP_4) | instskip(NEXT) | instid1(VALU_DEP_4)
	v_fmac_f32_e32 v26, v143, v181
	v_dual_fmac_f32 v10, v142, v187 :: v_dual_fmac_f32 v17, v135, v182
	v_fmac_f32_e32 v1, v134, v188
	v_fma_f32 v7, v145, v192, 0
	v_fma_f32 v16, v153, v191, 0
	s_delay_alu instid0(VALU_DEP_4) | instskip(NEXT) | instid1(VALU_DEP_4)
	v_fmac_f32_e32 v10, v143, v183
	v_dual_fmac_f32 v32, v154, v185 :: v_dual_fmac_f32 v1, v135, v184
	v_fmac_f32_e32 v23, v146, v186
	v_fma_f32 v30, v137, v189, 0
	v_fma_f32 v19, v149, v190, 0
	;; [unrolled: 1-line block ×3, first 2 shown]
	v_fmac_f32_e32 v32, v155, v181
	v_dual_fmac_f32 v16, v154, v187 :: v_dual_fmac_f32 v23, v147, v182
	v_fmac_f32_e32 v7, v146, v188
	v_fma_f32 v3, v149, v192, 0
	v_fma_f32 v12, v157, v191, 0
	v_fmac_f32_e32 v30, v138, v185
	v_dual_fmac_f32 v21, v130, v186 :: v_dual_fmac_f32 v16, v155, v183
	v_dual_fmac_f32 v28, v158, v185 :: v_dual_fmac_f32 v7, v147, v184
	s_delay_alu instid0(VALU_DEP_3) | instskip(NEXT) | instid1(VALU_DEP_3)
	v_dual_fmac_f32 v19, v150, v186 :: v_dual_fmac_f32 v30, v139, v181
	v_fmac_f32_e32 v21, v131, v182
	s_delay_alu instid0(VALU_DEP_3) | instskip(NEXT) | instid1(VALU_DEP_3)
	v_fmac_f32_e32 v28, v159, v181
	v_dual_fmac_f32 v12, v158, v187 :: v_dual_fmac_f32 v19, v151, v182
	s_waitcnt lgkmcnt(12)
	v_dual_fmac_f32 v3, v150, v188 :: v_dual_fmac_f32 v30, v140, v177
	s_delay_alu instid0(VALU_DEP_2) | instskip(SKIP_2) | instid1(VALU_DEP_3)
	v_dual_fmac_f32 v21, v132, v178 :: v_dual_fmac_f32 v12, v159, v183
	v_fma_f32 v6, v137, v192, 0
	s_waitcnt lgkmcnt(11)
	v_dual_fmac_f32 v3, v151, v184 :: v_dual_fmac_f32 v30, v105, v173
	s_delay_alu instid0(VALU_DEP_3) | instskip(SKIP_3) | instid1(VALU_DEP_4)
	v_dual_fmac_f32 v14, v140, v179 :: v_dual_fmac_f32 v21, v97, v174
	v_fmac_f32_e32 v5, v132, v180
	v_fmac_f32_e32 v6, v138, v188
	;; [unrolled: 1-line block ×4, first 2 shown]
	s_delay_alu instid0(VALU_DEP_4) | instskip(SKIP_3) | instid1(VALU_DEP_4)
	v_dual_fmac_f32 v26, v144, v177 :: v_dual_fmac_f32 v5, v97, v176
	v_fmac_f32_e32 v17, v136, v178
	v_fmac_f32_e32 v22, v140, v178
	;; [unrolled: 1-line block ×4, first 2 shown]
	s_delay_alu instid0(VALU_DEP_4) | instskip(SKIP_3) | instid1(VALU_DEP_4)
	v_dual_fmac_f32 v10, v144, v179 :: v_dual_fmac_f32 v17, v101, v174
	v_fmac_f32_e32 v1, v136, v180
	v_fma_f32 v25, v133, v189, 0
	v_fma_f32 v18, v141, v190, 0
	v_fmac_f32_e32 v10, v109, v175
	s_delay_alu instid0(VALU_DEP_4) | instskip(SKIP_1) | instid1(VALU_DEP_2)
	v_dual_fmac_f32 v32, v156, v177 :: v_dual_fmac_f32 v1, v101, v176
	v_dual_fmac_f32 v23, v148, v178 :: v_dual_fmac_f32 v6, v139, v184
	;; [unrolled: 1-line block ×3, first 2 shown]
	s_delay_alu instid0(VALU_DEP_2) | instskip(SKIP_2) | instid1(VALU_DEP_2)
	v_dual_fmac_f32 v16, v156, v179 :: v_dual_fmac_f32 v23, v113, v174
	s_waitcnt lgkmcnt(10)
	v_dual_fmac_f32 v7, v148, v180 :: v_dual_fmac_f32 v30, v106, v169
	v_dual_fmac_f32 v21, v98, v170 :: v_dual_fmac_f32 v16, v121, v175
	s_delay_alu instid0(VALU_DEP_2) | instskip(SKIP_1) | instid1(VALU_DEP_3)
	v_dual_fmac_f32 v28, v160, v177 :: v_dual_fmac_f32 v7, v113, v176
	s_waitcnt lgkmcnt(9)
	v_dual_fmac_f32 v19, v152, v178 :: v_dual_fmac_f32 v30, v107, v165
	s_delay_alu instid0(VALU_DEP_3) | instskip(NEXT) | instid1(VALU_DEP_3)
	v_dual_fmac_f32 v14, v106, v171 :: v_dual_fmac_f32 v21, v99, v166
	v_fmac_f32_e32 v28, v125, v173
	s_delay_alu instid0(VALU_DEP_3) | instskip(SKIP_1) | instid1(VALU_DEP_4)
	v_dual_fmac_f32 v12, v160, v179 :: v_dual_fmac_f32 v19, v117, v174
	v_fmac_f32_e32 v3, v152, v180
	v_dual_fmac_f32 v5, v98, v172 :: v_dual_fmac_f32 v14, v107, v167
	s_delay_alu instid0(VALU_DEP_3) | instskip(NEXT) | instid1(VALU_DEP_3)
	v_fmac_f32_e32 v12, v125, v175
	v_dual_fmac_f32 v26, v110, v169 :: v_dual_fmac_f32 v3, v117, v176
	s_delay_alu instid0(VALU_DEP_3) | instskip(SKIP_2) | instid1(VALU_DEP_4)
	v_fmac_f32_e32 v5, v99, v168
	v_fmac_f32_e32 v17, v102, v170
	;; [unrolled: 1-line block ×4, first 2 shown]
	v_dual_fmac_f32 v10, v110, v171 :: v_dual_fmac_f32 v29, v97, v173
	s_delay_alu instid0(VALU_DEP_4) | instskip(SKIP_2) | instid1(VALU_DEP_4)
	v_fmac_f32_e32 v17, v103, v166
	v_fmac_f32_e32 v1, v102, v172
	v_fmac_f32_e32 v18, v142, v186
	v_fmac_f32_e32 v10, v111, v167
	v_fmac_f32_e32 v32, v122, v169
	v_fmac_f32_e32 v25, v134, v185
	v_fmac_f32_e32 v1, v103, v168
	v_dual_fmac_f32 v23, v114, v170 :: v_dual_fmac_f32 v6, v140, v180
	s_delay_alu instid0(VALU_DEP_4) | instskip(SKIP_2) | instid1(VALU_DEP_4)
	v_fmac_f32_e32 v32, v123, v165
	v_fmac_f32_e32 v16, v122, v171
	;; [unrolled: 1-line block ×4, first 2 shown]
	s_waitcnt lgkmcnt(8)
	v_dual_fmac_f32 v7, v114, v172 :: v_dual_fmac_f32 v30, v108, v161
	v_fmac_f32_e32 v16, v123, v167
	v_dual_fmac_f32 v28, v126, v169 :: v_dual_fmac_f32 v21, v100, v162
	s_delay_alu instid0(VALU_DEP_3) | instskip(SKIP_2) | instid1(VALU_DEP_3)
	v_fmac_f32_e32 v7, v115, v168
	s_waitcnt lgkmcnt(7)
	v_dual_fmac_f32 v19, v118, v170 :: v_dual_fmac_f32 v30, v73, v197
	v_fmac_f32_e32 v28, v127, v165
	v_fmac_f32_e32 v12, v126, v171
	v_dual_fmac_f32 v14, v108, v163 :: v_dual_fmac_f32 v21, v65, v198
	s_delay_alu instid0(VALU_DEP_4) | instskip(NEXT) | instid1(VALU_DEP_3)
	v_fmac_f32_e32 v19, v119, v166
	v_dual_fmac_f32 v3, v118, v172 :: v_dual_fmac_f32 v12, v127, v167
	s_delay_alu instid0(VALU_DEP_3) | instskip(NEXT) | instid1(VALU_DEP_2)
	v_dual_fmac_f32 v5, v100, v164 :: v_dual_fmac_f32 v14, v73, v199
	v_dual_fmac_f32 v26, v112, v161 :: v_dual_fmac_f32 v3, v119, v168
	s_delay_alu instid0(VALU_DEP_2) | instskip(NEXT) | instid1(VALU_DEP_2)
	v_dual_fmac_f32 v22, v106, v170 :: v_dual_fmac_f32 v5, v65, v200
	v_dual_fmac_f32 v17, v104, v162 :: v_dual_fmac_f32 v26, v77, v197
	;; [unrolled: 1-line block ×3, first 2 shown]
	s_delay_alu instid0(VALU_DEP_3) | instskip(NEXT) | instid1(VALU_DEP_3)
	v_fmac_f32_e32 v22, v107, v166
	v_fmac_f32_e32 v17, v69, v198
	s_delay_alu instid0(VALU_DEP_3) | instskip(SKIP_3) | instid1(VALU_DEP_4)
	v_dual_fmac_f32 v1, v104, v164 :: v_dual_fmac_f32 v10, v77, v199
	v_fmac_f32_e32 v32, v124, v161
	v_fma_f32 v9, v133, v191, 0
	v_fma_f32 v2, v141, v192, 0
	v_fmac_f32_e32 v1, v69, v200
	s_delay_alu instid0(VALU_DEP_4) | instskip(SKIP_3) | instid1(VALU_DEP_4)
	v_dual_fmac_f32 v23, v116, v162 :: v_dual_fmac_f32 v32, v89, v197
	v_fmac_f32_e32 v16, v124, v163
	v_fmac_f32_e32 v18, v143, v182
	;; [unrolled: 1-line block ×4, first 2 shown]
	s_delay_alu instid0(VALU_DEP_4)
	v_dual_fmac_f32 v7, v116, v164 :: v_dual_fmac_f32 v16, v89, v199
	v_fmac_f32_e32 v28, v128, v161
	s_waitcnt lgkmcnt(6)
	v_fmac_f32_e32 v30, v74, v193
	v_fmac_f32_e32 v21, v66, v194
	;; [unrolled: 1-line block ×3, first 2 shown]
	v_dual_fmac_f32 v19, v120, v162 :: v_dual_fmac_f32 v28, v93, v197
	v_fmac_f32_e32 v12, v128, v163
	s_waitcnt lgkmcnt(5)
	v_fmac_f32_e32 v30, v75, v205
	v_dual_fmac_f32 v14, v74, v195 :: v_dual_fmac_f32 v21, v67, v206
	v_fmac_f32_e32 v19, v85, v198
	v_dual_fmac_f32 v3, v120, v164 :: v_dual_fmac_f32 v12, v93, v199
	s_delay_alu instid0(VALU_DEP_3) | instskip(NEXT) | instid1(VALU_DEP_2)
	v_dual_fmac_f32 v5, v66, v196 :: v_dual_fmac_f32 v14, v75, v207
	v_dual_fmac_f32 v26, v78, v193 :: v_dual_fmac_f32 v3, v85, v200
	v_fmac_f32_e32 v6, v105, v176
	s_delay_alu instid0(VALU_DEP_3) | instskip(NEXT) | instid1(VALU_DEP_3)
	v_fmac_f32_e32 v5, v67, v208
	v_dual_fmac_f32 v17, v70, v194 :: v_dual_fmac_f32 v26, v79, v205
	v_fmac_f32_e32 v13, v97, v175
	v_dual_fmac_f32 v29, v99, v165 :: v_dual_fmac_f32 v10, v78, v195
	s_delay_alu instid0(VALU_DEP_3)
	v_fmac_f32_e32 v17, v71, v206
	v_fmac_f32_e32 v1, v70, v196
	;; [unrolled: 1-line block ×3, first 2 shown]
	v_dual_fmac_f32 v9, v134, v187 :: v_dual_fmac_f32 v18, v144, v178
	v_dual_fmac_f32 v25, v136, v177 :: v_dual_fmac_f32 v6, v106, v172
	;; [unrolled: 1-line block ×5, first 2 shown]
	v_fmac_f32_e32 v23, v82, v194
	v_fma_f32 v31, v145, v189, 0
	v_fma_f32 v24, v153, v190, 0
	v_fmac_f32_e32 v2, v143, v184
	v_dual_fmac_f32 v9, v135, v183 :: v_dual_fmac_f32 v18, v109, v174
	v_dual_fmac_f32 v25, v101, v173 :: v_dual_fmac_f32 v6, v107, v168
	;; [unrolled: 1-line block ×3, first 2 shown]
	v_fmac_f32_e32 v29, v65, v197
	v_fmac_f32_e32 v32, v91, v205
	v_dual_fmac_f32 v16, v90, v195 :: v_dual_fmac_f32 v23, v83, v206
	v_fmac_f32_e32 v7, v82, v196
	v_fmac_f32_e32 v24, v154, v186
	v_dual_fmac_f32 v31, v146, v185 :: v_dual_fmac_f32 v2, v144, v180
	v_dual_fmac_f32 v9, v136, v179 :: v_dual_fmac_f32 v18, v110, v170
	;; [unrolled: 1-line block ×6, first 2 shown]
	v_fmac_f32_e32 v19, v86, v194
	v_fma_f32 v15, v145, v191, 0
	v_fma_f32 v8, v153, v192, 0
	v_fmac_f32_e32 v24, v155, v182
	v_dual_fmac_f32 v31, v147, v181 :: v_dual_fmac_f32 v2, v109, v176
	v_dual_fmac_f32 v9, v101, v175 :: v_dual_fmac_f32 v18, v111, v166
	;; [unrolled: 1-line block ×4, first 2 shown]
	v_fmac_f32_e32 v29, v67, v205
	v_fmac_f32_e32 v28, v95, v205
	v_dual_fmac_f32 v12, v94, v195 :: v_dual_fmac_f32 v19, v87, v206
	v_fmac_f32_e32 v3, v86, v196
	v_fmac_f32_e32 v8, v154, v188
	v_dual_fmac_f32 v15, v146, v187 :: v_dual_fmac_f32 v24, v156, v178
	v_dual_fmac_f32 v31, v148, v177 :: v_dual_fmac_f32 v2, v110, v172
	;; [unrolled: 1-line block ×4, first 2 shown]
	v_fmac_f32_e32 v13, v66, v195
	v_fmac_f32_e32 v12, v95, v207
	s_waitcnt lgkmcnt(4)
	v_dual_fmac_f32 v3, v87, v208 :: v_dual_fmac_f32 v30, v76, v201
	v_fmac_f32_e32 v29, v68, v201
	v_fma_f32 v27, v149, v189, 0
	v_fma_f32 v20, v157, v190, 0
	v_fmac_f32_e32 v8, v155, v184
	v_dual_fmac_f32 v15, v147, v183 :: v_dual_fmac_f32 v24, v121, v174
	v_dual_fmac_f32 v31, v113, v173 :: v_dual_fmac_f32 v2, v111, v168
	v_dual_fmac_f32 v9, v103, v167 :: v_dual_fmac_f32 v18, v77, v198
	v_dual_fmac_f32 v25, v69, v197 :: v_dual_fmac_f32 v6, v75, v208
	v_fmac_f32_e32 v13, v67, v207
	s_waitcnt lgkmcnt(3)
	v_fmac_f32_e32 v30, v41, v223
	v_dual_fmac_f32 v22, v76, v202 :: v_dual_fmac_f32 v29, v33, v223
	v_fmac_f32_e32 v21, v68, v202
	v_fmac_f32_e32 v20, v158, v186
	v_dual_fmac_f32 v27, v150, v185 :: v_dual_fmac_f32 v8, v156, v180
	v_dual_fmac_f32 v15, v148, v179 :: v_dual_fmac_f32 v24, v122, v170
	;; [unrolled: 1-line block ×6, first 2 shown]
	v_fmac_f32_e32 v13, v68, v203
	v_fma_f32 v11, v149, v191, 0
	v_fma_f32 v4, v157, v192, 0
	v_fmac_f32_e32 v20, v159, v182
	v_dual_fmac_f32 v27, v151, v181 :: v_dual_fmac_f32 v8, v121, v176
	v_dual_fmac_f32 v15, v113, v175 :: v_dual_fmac_f32 v24, v123, v166
	;; [unrolled: 1-line block ×4, first 2 shown]
	v_fmac_f32_e32 v25, v71, v205
	v_fmac_f32_e32 v14, v41, v225
	v_dual_fmac_f32 v6, v76, v204 :: v_dual_fmac_f32 v13, v33, v225
	v_fmac_f32_e32 v5, v68, v204
	v_fmac_f32_e32 v4, v158, v188
	v_dual_fmac_f32 v11, v150, v187 :: v_dual_fmac_f32 v20, v160, v178
	v_dual_fmac_f32 v27, v152, v177 :: v_dual_fmac_f32 v8, v122, v172
	;; [unrolled: 1-line block ×11, first 2 shown]
	v_fmac_f32_e32 v9, v71, v207
	v_fmac_f32_e32 v26, v45, v223
	v_dual_fmac_f32 v18, v80, v202 :: v_dual_fmac_f32 v25, v37, v223
	v_fmac_f32_e32 v17, v72, v202
	v_fmac_f32_e32 v4, v160, v180
	v_dual_fmac_f32 v11, v152, v179 :: v_dual_fmac_f32 v20, v126, v170
	v_dual_fmac_f32 v27, v118, v169 :: v_dual_fmac_f32 v8, v124, v164
	;; [unrolled: 1-line block ×9, first 2 shown]
	v_fmac_f32_e32 v31, v83, v205
	v_fmac_f32_e32 v10, v45, v225
	v_dual_fmac_f32 v2, v80, v204 :: v_dual_fmac_f32 v9, v37, v225
	v_fmac_f32_e32 v1, v72, v204
	v_fmac_f32_e32 v4, v126, v172
	v_dual_fmac_f32 v11, v118, v171 :: v_dual_fmac_f32 v20, v128, v162
	v_dual_fmac_f32 v27, v120, v161 :: v_dual_fmac_f32 v8, v90, v196
	v_dual_fmac_f32 v15, v82, v195 :: v_dual_fmac_f32 v2, v45, v226
	v_dual_fmac_f32 v32, v92, v201 :: v_dual_fmac_f32 v1, v37, v226
	v_dual_fmac_f32 v31, v84, v201 :: v_dual_fmac_f32 v4, v127, v168
	v_dual_fmac_f32 v11, v119, v167 :: v_dual_fmac_f32 v20, v93, v198
	v_dual_fmac_f32 v27, v85, v197 :: v_dual_fmac_f32 v8, v91, v208
	v_fmac_f32_e32 v15, v83, v207
	v_fmac_f32_e32 v32, v57, v223
	v_dual_fmac_f32 v24, v92, v202 :: v_dual_fmac_f32 v31, v49, v223
	v_fmac_f32_e32 v23, v84, v202
	v_fmac_f32_e32 v4, v128, v164
	v_dual_fmac_f32 v11, v120, v163 :: v_dual_fmac_f32 v20, v94, v194
	s_delay_alu instid0(VALU_DEP_4) | instskip(NEXT) | instid1(VALU_DEP_4)
	v_dual_fmac_f32 v27, v86, v193 :: v_dual_fmac_f32 v24, v57, v224
	v_dual_fmac_f32 v16, v92, v203 :: v_dual_fmac_f32 v23, v49, v224
	s_delay_alu instid0(VALU_DEP_4) | instskip(NEXT) | instid1(VALU_DEP_4)
	v_dual_fmac_f32 v15, v84, v203 :: v_dual_fmac_f32 v4, v93, v200
	v_dual_fmac_f32 v11, v85, v199 :: v_dual_fmac_f32 v20, v95, v206
	s_delay_alu instid0(VALU_DEP_4) | instskip(NEXT) | instid1(VALU_DEP_4)
	v_fmac_f32_e32 v27, v87, v205
	v_fmac_f32_e32 v16, v57, v225
	s_delay_alu instid0(VALU_DEP_4) | instskip(SKIP_2) | instid1(VALU_DEP_3)
	v_dual_fmac_f32 v8, v92, v204 :: v_dual_fmac_f32 v15, v49, v225
	v_fmac_f32_e32 v7, v84, v204
	v_fmac_f32_e32 v4, v94, v196
	v_dual_fmac_f32 v11, v86, v195 :: v_dual_fmac_f32 v8, v57, v226
	s_delay_alu instid0(VALU_DEP_3) | instskip(NEXT) | instid1(VALU_DEP_3)
	v_dual_fmac_f32 v28, v96, v201 :: v_dual_fmac_f32 v7, v49, v226
	v_dual_fmac_f32 v27, v88, v201 :: v_dual_fmac_f32 v4, v95, v208
	s_delay_alu instid0(VALU_DEP_3) | instskip(NEXT) | instid1(VALU_DEP_3)
	v_fmac_f32_e32 v11, v87, v207
	v_fmac_f32_e32 v28, v61, v223
	s_delay_alu instid0(VALU_DEP_3) | instskip(SKIP_2) | instid1(VALU_DEP_2)
	v_dual_fmac_f32 v20, v96, v202 :: v_dual_fmac_f32 v27, v53, v223
	s_waitcnt lgkmcnt(2)
	v_dual_fmac_f32 v19, v88, v202 :: v_dual_fmac_f32 v30, v42, v217
	v_dual_fmac_f32 v21, v34, v218 :: v_dual_fmac_f32 v20, v61, v224
	s_delay_alu instid0(VALU_DEP_2) | instskip(SKIP_2) | instid1(VALU_DEP_3)
	v_dual_fmac_f32 v12, v96, v203 :: v_dual_fmac_f32 v19, v53, v224
	v_dual_fmac_f32 v11, v88, v203 :: v_dual_fmac_f32 v22, v42, v218
	v_fmac_f32_e32 v29, v34, v217
	v_fmac_f32_e32 v12, v61, v225
	s_delay_alu instid0(VALU_DEP_3) | instskip(SKIP_2) | instid1(VALU_DEP_3)
	v_dual_fmac_f32 v4, v96, v204 :: v_dual_fmac_f32 v11, v53, v225
	v_fmac_f32_e32 v3, v88, v204
	v_fmac_f32_e32 v6, v42, v220
	v_dual_fmac_f32 v13, v34, v219 :: v_dual_fmac_f32 v4, v61, v226
	s_waitcnt lgkmcnt(1)
	s_delay_alu instid0(VALU_DEP_3) | instskip(SKIP_3) | instid1(VALU_DEP_3)
	v_dual_fmac_f32 v30, v43, v213 :: v_dual_fmac_f32 v3, v53, v226
	v_dual_fmac_f32 v14, v42, v219 :: v_dual_fmac_f32 v21, v35, v214
	v_fmac_f32_e32 v5, v34, v220
	v_fmac_f32_e32 v18, v46, v218
	v_dual_fmac_f32 v25, v38, v217 :: v_dual_fmac_f32 v14, v43, v215
	s_delay_alu instid0(VALU_DEP_3) | instskip(SKIP_2) | instid1(VALU_DEP_3)
	v_dual_fmac_f32 v26, v46, v217 :: v_dual_fmac_f32 v5, v35, v216
	v_fmac_f32_e32 v17, v38, v218
	v_fmac_f32_e32 v2, v46, v220
	v_dual_fmac_f32 v9, v38, v219 :: v_dual_fmac_f32 v26, v47, v213
	s_delay_alu instid0(VALU_DEP_3) | instskip(SKIP_2) | instid1(VALU_DEP_3)
	;; [unrolled: 5-line block ×5, first 2 shown]
	v_dual_fmac_f32 v28, v62, v217 :: v_dual_fmac_f32 v7, v51, v216
	v_fmac_f32_e32 v19, v54, v218
	v_fmac_f32_e32 v4, v62, v220
	v_dual_fmac_f32 v11, v54, v219 :: v_dual_fmac_f32 v28, v63, v213
	s_delay_alu instid0(VALU_DEP_3)
	v_dual_fmac_f32 v12, v62, v219 :: v_dual_fmac_f32 v19, v55, v214
	v_dual_fmac_f32 v3, v54, v220 :: v_dual_fmac_f32 v22, v43, v214
	v_fmac_f32_e32 v29, v35, v213
	v_fmac_f32_e32 v6, v43, v216
	;; [unrolled: 1-line block ×14, first 2 shown]
	s_waitcnt lgkmcnt(0)
	v_dual_fmac_f32 v3, v55, v216 :: v_dual_fmac_f32 v30, v44, v209
	v_fmac_f32_e32 v4, v63, v216
	v_fmac_f32_e32 v11, v55, v215
	;; [unrolled: 1-line block ×33, first 2 shown]
	.loc	1 30 20                         ; matmul.py:30:20
	s_waitcnt_vscnt null, 0x0
	s_barrier
	buffer_gl0_inv
	s_clause 0x1                            ; 8-byte Folded Reload
	scratch_load_b32 v33, off, off offset:56
	scratch_load_b32 v34, off, off offset:60
	s_waitcnt vmcnt(0)
	ds_store_2addr_stride64_b32 v253, v34, v33 offset1:2
	s_clause 0x1                            ; 8-byte Folded Reload
	scratch_load_b32 v33, off, off offset:64
	scratch_load_b32 v34, off, off offset:68
	s_waitcnt vmcnt(0)
	ds_store_2addr_stride64_b32 v253, v34, v33 offset0:4 offset1:6
	s_clause 0x1                            ; 8-byte Folded Reload
	scratch_load_b32 v33, off, off offset:72
	scratch_load_b32 v34, off, off offset:76
	s_waitcnt vmcnt(0)
	ds_store_2addr_stride64_b32 v253, v34, v33 offset0:8 offset1:10
	.loc	1 0 0 is_stmt 0                 ; matmul.py:0
	s_clause 0x1                            ; 8-byte Folded Reload
	scratch_load_b32 v33, off, off offset:84
	scratch_load_b32 v34, off, off offset:92
	s_waitcnt vmcnt(0)
	ds_store_2addr_stride64_b32 v253, v33, v34 offset0:12 offset1:16
	.loc	1 31 20 is_stmt 1               ; matmul.py:31:20
	s_clause 0x1                            ; 8-byte Folded Reload
	scratch_load_b32 v33, off, off offset:88
	scratch_load_b32 v34, off, off offset:100
	s_waitcnt vmcnt(0)
	ds_store_2addr_stride64_b32 v253, v33, v34 offset0:18 offset1:20
	s_clause 0x1                            ; 8-byte Folded Reload
	scratch_load_b32 v33, off, off offset:96
	scratch_load_b32 v34, off, off offset:108
	s_waitcnt vmcnt(0)
	ds_store_2addr_stride64_b32 v253, v33, v34 offset0:22 offset1:24
	;; [unrolled: 5-line block ×3, first 2 shown]
	.loc	1 0 0 is_stmt 0                 ; matmul.py:0
	scratch_load_b32 v33, off, off offset:80 ; 4-byte Folded Reload
	s_waitcnt vmcnt(0)
	ds_store_2addr_stride64_b32 v255, v33, v129 offset1:16
	.loc	1 29 22 is_stmt 1               ; matmul.py:29:22
	s_cbranch_scc1 .LBB0_100
; %bb.66:                               ; %.peel.next
	s_lshl_b64 s[16:17], s[2:3], 3
	v_and_b32_e32 v185, 15, v0
	s_add_u32 s7, s12, s16
	s_addc_u32 s16, s13, s17
	s_lshl_b64 s[22:23], s[14:15], 3
	s_lshl_b64 s[12:13], s[2:3], 2
	s_add_u32 s3, s10, s22
	s_addc_u32 s17, s11, s23
	s_lshl_b64 s[10:11], s[14:15], 2
	s_add_i32 s14, s20, -2
	s_sub_i32 s6, s6, 32
	s_branch .LBB0_68
.LBB0_67:                               ;   in Loop: Header=BB0_68 Depth=1
	.loc	1 0 22 is_stmt 0                ; matmul.py:0:22
	s_or_b32 exec_lo, exec_lo, s2
	.loc	1 31 20 is_stmt 1               ; matmul.py:31:20
	ds_load_b128 v[161:164], v222 offset:4096
	ds_load_b128 v[181:184], v222 offset:4352
	.loc	1 29 22                         ; matmul.py:29:22
	s_add_u32 s7, s7, s12
	s_addc_u32 s16, s16, s13
	s_add_u32 s3, s3, s10
	s_addc_u32 s17, s17, s11
	s_add_i32 s14, s14, -1
	s_add_i32 s6, s6, -16
	s_cmp_lg_u32 s14, 0
	.loc	1 32 35                         ; matmul.py:32:35
	s_waitcnt lgkmcnt(1)
	v_fmac_f32_e32 v30, v137, v161
	v_fmac_f32_e32 v21, v129, v162
	;; [unrolled: 1-line block ×31, first 2 shown]
	s_waitcnt lgkmcnt(0)
	v_dual_fmac_f32 v11, v149, v163 :: v_dual_fmac_f32 v30, v138, v181
	v_fmac_f32_e32 v21, v130, v182
	v_fmac_f32_e32 v22, v138, v182
	;; [unrolled: 1-line block ×31, first 2 shown]
	.loc	1 31 20                         ; matmul.py:31:20
	ds_load_b128 v[161:164], v222 offset:4608
	ds_load_b128 v[181:184], v222 offset:4864
	.loc	1 32 35                         ; matmul.py:32:35
	s_waitcnt lgkmcnt(1)
	v_fmac_f32_e32 v30, v139, v161
	v_fmac_f32_e32 v21, v131, v162
	;; [unrolled: 1-line block ×15, first 2 shown]
	s_waitcnt lgkmcnt(0)
	v_dual_fmac_f32 v9, v135, v163 :: v_dual_fmac_f32 v30, v140, v181
	v_fmac_f32_e32 v21, v132, v182
	v_fmac_f32_e32 v22, v140, v182
	;; [unrolled: 1-line block ×15, first 2 shown]
	.loc	1 31 20                         ; matmul.py:31:20
	ds_load_b128 v[129:132], v222 offset:5120
	ds_load_b128 v[133:136], v222 offset:5376
	.loc	1 32 35                         ; matmul.py:32:35
	v_fmac_f32_e32 v32, v155, v161
	v_fmac_f32_e32 v23, v147, v162
	;; [unrolled: 1-line block ×15, first 2 shown]
	v_dual_fmac_f32 v11, v151, v163 :: v_dual_fmac_f32 v32, v156, v181
	v_fmac_f32_e32 v23, v148, v182
	v_fmac_f32_e32 v24, v156, v182
	;; [unrolled: 1-line block ×14, first 2 shown]
	s_waitcnt lgkmcnt(1)
	v_dual_fmac_f32 v11, v152, v183 :: v_dual_fmac_f32 v30, v105, v129
	v_fmac_f32_e32 v21, v97, v130
	v_fmac_f32_e32 v22, v105, v130
	;; [unrolled: 1-line block ×30, first 2 shown]
	s_waitcnt lgkmcnt(0)
	v_dual_fmac_f32 v11, v117, v131 :: v_dual_fmac_f32 v30, v106, v133
	v_fmac_f32_e32 v21, v98, v134
	v_fmac_f32_e32 v22, v106, v134
	;; [unrolled: 1-line block ×31, first 2 shown]
	.loc	1 31 20                         ; matmul.py:31:20
	ds_load_b128 v[129:132], v222 offset:5632
	ds_load_b128 v[133:136], v222 offset:5888
	.loc	1 32 35                         ; matmul.py:32:35
	s_waitcnt lgkmcnt(1)
	v_fmac_f32_e32 v30, v107, v129
	v_fmac_f32_e32 v21, v99, v130
	;; [unrolled: 1-line block ×15, first 2 shown]
	s_waitcnt lgkmcnt(0)
	v_dual_fmac_f32 v9, v103, v131 :: v_dual_fmac_f32 v30, v108, v133
	v_fmac_f32_e32 v21, v100, v134
	v_fmac_f32_e32 v22, v108, v134
	;; [unrolled: 1-line block ×15, first 2 shown]
	.loc	1 31 20                         ; matmul.py:31:20
	ds_load_b128 v[97:100], v222 offset:6144
	ds_load_b128 v[101:104], v222 offset:6400
	.loc	1 32 35                         ; matmul.py:32:35
	v_fmac_f32_e32 v32, v123, v129
	v_fmac_f32_e32 v23, v115, v130
	;; [unrolled: 1-line block ×15, first 2 shown]
	v_dual_fmac_f32 v11, v119, v131 :: v_dual_fmac_f32 v32, v124, v133
	v_fmac_f32_e32 v23, v116, v134
	v_fmac_f32_e32 v24, v124, v134
	;; [unrolled: 1-line block ×14, first 2 shown]
	s_waitcnt lgkmcnt(1)
	v_dual_fmac_f32 v11, v120, v135 :: v_dual_fmac_f32 v30, v73, v97
	v_fmac_f32_e32 v21, v65, v98
	v_fmac_f32_e32 v22, v73, v98
	;; [unrolled: 1-line block ×30, first 2 shown]
	s_waitcnt lgkmcnt(0)
	v_dual_fmac_f32 v11, v85, v99 :: v_dual_fmac_f32 v30, v74, v101
	v_fmac_f32_e32 v21, v66, v102
	v_fmac_f32_e32 v22, v74, v102
	;; [unrolled: 1-line block ×31, first 2 shown]
	.loc	1 31 20                         ; matmul.py:31:20
	ds_load_b128 v[97:100], v222 offset:6656
	ds_load_b128 v[101:104], v222 offset:6912
	.loc	1 32 35                         ; matmul.py:32:35
	s_waitcnt lgkmcnt(1)
	v_fmac_f32_e32 v30, v75, v97
	v_fmac_f32_e32 v21, v67, v98
	;; [unrolled: 1-line block ×15, first 2 shown]
	s_waitcnt lgkmcnt(0)
	v_dual_fmac_f32 v9, v71, v99 :: v_dual_fmac_f32 v30, v76, v101
	v_fmac_f32_e32 v21, v68, v102
	v_fmac_f32_e32 v22, v76, v102
	;; [unrolled: 1-line block ×15, first 2 shown]
	.loc	1 31 20                         ; matmul.py:31:20
	ds_load_b128 v[65:68], v222 offset:7168
	ds_load_b128 v[69:72], v222 offset:7424
	.loc	1 32 35                         ; matmul.py:32:35
	v_fmac_f32_e32 v32, v91, v97
	v_fmac_f32_e32 v23, v83, v98
	;; [unrolled: 1-line block ×15, first 2 shown]
	v_dual_fmac_f32 v11, v87, v99 :: v_dual_fmac_f32 v32, v92, v101
	v_fmac_f32_e32 v23, v84, v102
	v_fmac_f32_e32 v24, v92, v102
	v_fmac_f32_e32 v31, v84, v101
	v_fmac_f32_e32 v16, v92, v103
	v_fmac_f32_e32 v7, v84, v104
	v_fmac_f32_e32 v8, v92, v104
	v_fmac_f32_e32 v15, v84, v103
	v_fmac_f32_e32 v28, v96, v101
	v_fmac_f32_e32 v19, v88, v102
	v_fmac_f32_e32 v20, v96, v102
	v_fmac_f32_e32 v27, v88, v101
	v_fmac_f32_e32 v12, v96, v103
	v_fmac_f32_e32 v3, v88, v104
	v_fmac_f32_e32 v4, v96, v104
	s_waitcnt lgkmcnt(1)
	v_dual_fmac_f32 v11, v88, v103 :: v_dual_fmac_f32 v30, v41, v65
	v_fmac_f32_e32 v21, v33, v66
	v_fmac_f32_e32 v22, v41, v66
	;; [unrolled: 1-line block ×30, first 2 shown]
	s_waitcnt lgkmcnt(0)
	v_dual_fmac_f32 v11, v53, v67 :: v_dual_fmac_f32 v30, v42, v69
	v_fmac_f32_e32 v21, v34, v70
	v_fmac_f32_e32 v22, v42, v70
	;; [unrolled: 1-line block ×31, first 2 shown]
	.loc	1 31 20                         ; matmul.py:31:20
	ds_load_b128 v[65:68], v222 offset:7680
	ds_load_b128 v[69:72], v222 offset:7936
	.loc	1 32 35                         ; matmul.py:32:35
	s_waitcnt lgkmcnt(1)
	v_fmac_f32_e32 v30, v43, v65
	v_fmac_f32_e32 v21, v35, v66
	;; [unrolled: 1-line block ×31, first 2 shown]
	s_waitcnt lgkmcnt(0)
	v_dual_fmac_f32 v11, v55, v67 :: v_dual_fmac_f32 v30, v44, v69
	v_fmac_f32_e32 v21, v36, v70
	v_fmac_f32_e32 v22, v44, v70
	;; [unrolled: 1-line block ×31, first 2 shown]
	.loc	1 30 20                         ; matmul.py:30:20
	s_waitcnt vmcnt(0)
	s_barrier
	buffer_gl0_inv
	ds_store_2addr_stride64_b32 v253, v166, v165 offset1:2
	ds_store_2addr_stride64_b32 v253, v168, v167 offset0:4 offset1:6
	ds_store_2addr_stride64_b32 v253, v170, v169 offset0:8 offset1:10
	.loc	1 0 0 is_stmt 0                 ; matmul.py:0
	ds_store_2addr_stride64_b32 v253, v172, v174 offset0:12 offset1:16
	.loc	1 31 20 is_stmt 1               ; matmul.py:31:20
	ds_store_2addr_stride64_b32 v253, v173, v176 offset0:18 offset1:20
	ds_store_2addr_stride64_b32 v253, v175, v178 offset0:22 offset1:24
	;; [unrolled: 1-line block ×3, first 2 shown]
	.loc	1 0 0 is_stmt 0                 ; matmul.py:0
	ds_store_2addr_stride64_b32 v255, v171, v179 offset1:16
	.loc	1 29 22 is_stmt 1               ; matmul.py:29:22
	s_cbranch_scc0 .LBB0_101
.LBB0_68:                               ; =>This Inner Loop Header: Depth=1
	.loc	1 30 51                         ; matmul.py:30:51
	v_cmp_gt_i32_e32 vcc_lo, s6, v185
	v_dual_mov_b32 v165, 0 :: v_dual_mov_b32 v166, 0
	.loc	1 30 20 is_stmt 0               ; matmul.py:30:20
	s_and_saveexec_b32 s15, vcc_lo
	s_cbranch_execz .LBB0_70
; %bb.69:                               ;   in Loop: Header=BB0_68 Depth=1
	.loc	1 0 20                          ; matmul.py:0:20
	scratch_load_b64 v[33:34], off, off     ; 8-byte Folded Reload
	.loc	1 33 18 is_stmt 1               ; matmul.py:33:18
	s_waitcnt vmcnt(0)
	v_add_co_u32 v33, s2, s3, v33
	s_delay_alu instid0(VALU_DEP_1)
	v_add_co_ci_u32_e64 v34, null, s17, v34, s2
	.loc	1 30 20                         ; matmul.py:30:20
	global_load_b32 v166, v[33:34], off
.LBB0_70:                               ;   in Loop: Header=BB0_68 Depth=1
	.loc	1 0 20 is_stmt 0                ; matmul.py:0:20
	s_or_b32 exec_lo, exec_lo, s15
	.loc	1 30 20                         ; matmul.py:30:20
	s_and_saveexec_b32 s15, vcc_lo
	s_cbranch_execz .LBB0_72
; %bb.71:                               ;   in Loop: Header=BB0_68 Depth=1
	.loc	1 0 20                          ; matmul.py:0:20
	scratch_load_b64 v[33:34], off, off offset:8 ; 8-byte Folded Reload
	.loc	1 33 18 is_stmt 1               ; matmul.py:33:18
	s_waitcnt vmcnt(0)
	v_add_co_u32 v33, s2, s3, v33
	s_delay_alu instid0(VALU_DEP_1)
	v_add_co_ci_u32_e64 v34, null, s17, v34, s2
	.loc	1 30 20                         ; matmul.py:30:20
	global_load_b32 v165, v[33:34], off
.LBB0_72:                               ;   in Loop: Header=BB0_68 Depth=1
	.loc	1 0 20 is_stmt 0                ; matmul.py:0:20
	s_or_b32 exec_lo, exec_lo, s15
	v_dual_mov_b32 v167, 0 :: v_dual_mov_b32 v168, 0
	.loc	1 30 20                         ; matmul.py:30:20
	s_and_saveexec_b32 s15, vcc_lo
	s_cbranch_execz .LBB0_74
; %bb.73:                               ;   in Loop: Header=BB0_68 Depth=1
	.loc	1 0 20                          ; matmul.py:0:20
	scratch_load_b64 v[33:34], off, off offset:16 ; 8-byte Folded Reload
	.loc	1 33 18 is_stmt 1               ; matmul.py:33:18
	s_waitcnt vmcnt(0)
	v_add_co_u32 v33, s2, s3, v33
	s_delay_alu instid0(VALU_DEP_1)
	v_add_co_ci_u32_e64 v34, null, s17, v34, s2
	.loc	1 30 20                         ; matmul.py:30:20
	global_load_b32 v168, v[33:34], off
.LBB0_74:                               ;   in Loop: Header=BB0_68 Depth=1
	.loc	1 0 20 is_stmt 0                ; matmul.py:0:20
	s_or_b32 exec_lo, exec_lo, s15
	.loc	1 30 20                         ; matmul.py:30:20
	s_and_saveexec_b32 s15, vcc_lo
	s_cbranch_execz .LBB0_76
; %bb.75:                               ;   in Loop: Header=BB0_68 Depth=1
	.loc	1 33 18 is_stmt 1               ; matmul.py:33:18
	v_add_co_u32 v33, s2, s3, v227
	s_delay_alu instid0(VALU_DEP_1)
	v_add_co_ci_u32_e64 v34, null, s17, v228, s2
	.loc	1 30 20                         ; matmul.py:30:20
	global_load_b32 v167, v[33:34], off
.LBB0_76:                               ;   in Loop: Header=BB0_68 Depth=1
	.loc	1 0 20 is_stmt 0                ; matmul.py:0:20
	s_or_b32 exec_lo, exec_lo, s15
	v_dual_mov_b32 v169, 0 :: v_dual_mov_b32 v170, 0
	.loc	1 30 20                         ; matmul.py:30:20
	s_and_saveexec_b32 s15, vcc_lo
	s_cbranch_execz .LBB0_78
; %bb.77:                               ;   in Loop: Header=BB0_68 Depth=1
	.loc	1 33 18 is_stmt 1               ; matmul.py:33:18
	v_add_co_u32 v33, s2, s3, v229
	s_delay_alu instid0(VALU_DEP_1)
	v_add_co_ci_u32_e64 v34, null, s17, v230, s2
	.loc	1 30 20                         ; matmul.py:30:20
	global_load_b32 v170, v[33:34], off
.LBB0_78:                               ;   in Loop: Header=BB0_68 Depth=1
	.loc	1 0 20 is_stmt 0                ; matmul.py:0:20
	s_or_b32 exec_lo, exec_lo, s15
	.loc	1 30 20                         ; matmul.py:30:20
	s_and_saveexec_b32 s15, vcc_lo
	s_cbranch_execz .LBB0_80
; %bb.79:                               ;   in Loop: Header=BB0_68 Depth=1
	.loc	1 33 18 is_stmt 1               ; matmul.py:33:18
	v_add_co_u32 v33, s2, s3, v231
	s_delay_alu instid0(VALU_DEP_1)
	v_add_co_ci_u32_e64 v34, null, s17, v232, s2
	.loc	1 30 20                         ; matmul.py:30:20
	global_load_b32 v169, v[33:34], off
.LBB0_80:                               ;   in Loop: Header=BB0_68 Depth=1
	.loc	1 0 20 is_stmt 0                ; matmul.py:0:20
	s_or_b32 exec_lo, exec_lo, s15
	v_dual_mov_b32 v171, 0 :: v_dual_mov_b32 v172, 0
	.loc	1 30 20                         ; matmul.py:30:20
	s_and_saveexec_b32 s15, vcc_lo
	s_cbranch_execz .LBB0_82
; %bb.81:                               ;   in Loop: Header=BB0_68 Depth=1
	.loc	1 33 18 is_stmt 1               ; matmul.py:33:18
	v_add_co_u32 v33, s2, s3, v233
	s_delay_alu instid0(VALU_DEP_1)
	v_add_co_ci_u32_e64 v34, null, s17, v234, s2
	.loc	1 30 20                         ; matmul.py:30:20
	global_load_b32 v172, v[33:34], off
.LBB0_82:                               ;   in Loop: Header=BB0_68 Depth=1
	.loc	1 0 20 is_stmt 0                ; matmul.py:0:20
	s_or_b32 exec_lo, exec_lo, s15
	.loc	1 30 20                         ; matmul.py:30:20
	s_and_saveexec_b32 s2, vcc_lo
	s_cbranch_execz .LBB0_84
; %bb.83:                               ;   in Loop: Header=BB0_68 Depth=1
	.loc	1 34 18 is_stmt 1               ; matmul.py:34:18
	v_add_co_u32 v33, vcc_lo, s3, v235
	s_delay_alu instid0(VALU_DEP_1)
	v_add_co_ci_u32_e64 v34, null, s17, v236, vcc_lo
	.loc	1 30 20                         ; matmul.py:30:20
	global_load_b32 v171, v[33:34], off
.LBB0_84:                               ;   in Loop: Header=BB0_68 Depth=1
	.loc	1 0 20 is_stmt 0                ; matmul.py:0:20
	s_or_b32 exec_lo, exec_lo, s2
	.loc	1 30 20                         ; matmul.py:30:20
	s_waitcnt vmcnt(0) lgkmcnt(0)
	s_barrier
	buffer_gl0_inv
	ds_load_b128 v[129:132], v221
	ds_load_b128 v[97:100], v221 offset:16
	ds_load_b128 v[65:68], v221 offset:32
	;; [unrolled: 1-line block ×31, first 2 shown]
	v_dual_mov_b32 v173, 0 :: v_dual_mov_b32 v174, 0
	.loc	1 31 20 is_stmt 1               ; matmul.py:31:20
	s_mov_b32 s2, exec_lo
	.loc	1 31 51 is_stmt 0               ; matmul.py:31:51
	v_cmpx_gt_i32_e64 s6, v254
	.loc	1 31 20                         ; matmul.py:31:20
	s_cbranch_execz .LBB0_86
; %bb.85:                               ;   in Loop: Header=BB0_68 Depth=1
	.loc	1 34 18 is_stmt 1               ; matmul.py:34:18
	v_add_co_u32 v161, vcc_lo, s7, v237
	s_delay_alu instid0(VALU_DEP_1)
	v_add_co_ci_u32_e64 v162, null, s16, v238, vcc_lo
	.loc	1 31 20                         ; matmul.py:31:20
	global_load_b32 v174, v[161:162], off
.LBB0_86:                               ;   in Loop: Header=BB0_68 Depth=1
	.loc	1 0 20 is_stmt 0                ; matmul.py:0:20
	s_or_b32 exec_lo, exec_lo, s2
	.loc	1 31 51                         ; matmul.py:31:51
	v_or_b32_e32 v161, 2, v254
	.loc	1 31 20                         ; matmul.py:31:20
	s_mov_b32 s2, exec_lo
	s_delay_alu instid0(VALU_DEP_1)
	.loc	1 31 51                         ; matmul.py:31:51
	v_cmpx_gt_i32_e64 s6, v161
	.loc	1 31 20                         ; matmul.py:31:20
	s_cbranch_execz .LBB0_88
; %bb.87:                               ;   in Loop: Header=BB0_68 Depth=1
	.loc	1 34 18 is_stmt 1               ; matmul.py:34:18
	v_add_co_u32 v161, vcc_lo, s7, v239
	s_delay_alu instid0(VALU_DEP_1)
	v_add_co_ci_u32_e64 v162, null, s16, v240, vcc_lo
	.loc	1 31 20                         ; matmul.py:31:20
	global_load_b32 v173, v[161:162], off
.LBB0_88:                               ;   in Loop: Header=BB0_68 Depth=1
	.loc	1 0 20 is_stmt 0                ; matmul.py:0:20
	s_or_b32 exec_lo, exec_lo, s2
	.loc	1 31 51                         ; matmul.py:31:51
	v_or_b32_e32 v161, 4, v254
	v_dual_mov_b32 v175, 0 :: v_dual_mov_b32 v176, 0
	.loc	1 31 20                         ; matmul.py:31:20
	s_mov_b32 s2, exec_lo
	s_delay_alu instid0(VALU_DEP_2)
	.loc	1 31 51                         ; matmul.py:31:51
	v_cmpx_gt_i32_e64 s6, v161
	.loc	1 31 20                         ; matmul.py:31:20
	s_cbranch_execz .LBB0_90
; %bb.89:                               ;   in Loop: Header=BB0_68 Depth=1
	.loc	1 34 18 is_stmt 1               ; matmul.py:34:18
	v_add_co_u32 v161, vcc_lo, s7, v241
	s_delay_alu instid0(VALU_DEP_1)
	v_add_co_ci_u32_e64 v162, null, s16, v242, vcc_lo
	.loc	1 31 20                         ; matmul.py:31:20
	global_load_b32 v176, v[161:162], off
.LBB0_90:                               ;   in Loop: Header=BB0_68 Depth=1
	.loc	1 0 20 is_stmt 0                ; matmul.py:0:20
	s_or_b32 exec_lo, exec_lo, s2
	.loc	1 31 51                         ; matmul.py:31:51
	v_or_b32_e32 v161, 6, v254
	.loc	1 31 20                         ; matmul.py:31:20
	s_mov_b32 s2, exec_lo
	s_delay_alu instid0(VALU_DEP_1)
	.loc	1 31 51                         ; matmul.py:31:51
	v_cmpx_gt_i32_e64 s6, v161
	.loc	1 31 20                         ; matmul.py:31:20
	s_cbranch_execz .LBB0_92
; %bb.91:                               ;   in Loop: Header=BB0_68 Depth=1
	.loc	1 34 18 is_stmt 1               ; matmul.py:34:18
	v_add_co_u32 v161, vcc_lo, s7, v243
	s_delay_alu instid0(VALU_DEP_1)
	v_add_co_ci_u32_e64 v162, null, s16, v244, vcc_lo
	.loc	1 31 20                         ; matmul.py:31:20
	global_load_b32 v175, v[161:162], off
.LBB0_92:                               ;   in Loop: Header=BB0_68 Depth=1
	.loc	1 0 20 is_stmt 0                ; matmul.py:0:20
	s_or_b32 exec_lo, exec_lo, s2
	.loc	1 31 51                         ; matmul.py:31:51
	v_or_b32_e32 v161, 8, v254
	v_dual_mov_b32 v177, 0 :: v_dual_mov_b32 v178, 0
	.loc	1 31 20                         ; matmul.py:31:20
	s_mov_b32 s2, exec_lo
	s_delay_alu instid0(VALU_DEP_2)
	.loc	1 31 51                         ; matmul.py:31:51
	;; [unrolled: 39-line block ×3, first 2 shown]
	v_cmpx_gt_i32_e64 s6, v161
	.loc	1 31 20                         ; matmul.py:31:20
	s_cbranch_execz .LBB0_98
; %bb.97:                               ;   in Loop: Header=BB0_68 Depth=1
	.loc	1 34 18 is_stmt 1               ; matmul.py:34:18
	v_add_co_u32 v161, vcc_lo, s7, v249
	s_delay_alu instid0(VALU_DEP_1)
	v_add_co_ci_u32_e64 v162, null, s16, v250, vcc_lo
	.loc	1 31 20                         ; matmul.py:31:20
	global_load_b32 v180, v[161:162], off
.LBB0_98:                               ;   in Loop: Header=BB0_68 Depth=1
	.loc	1 0 20 is_stmt 0                ; matmul.py:0:20
	s_or_b32 exec_lo, exec_lo, s2
	.loc	1 31 51                         ; matmul.py:31:51
	v_or_b32_e32 v161, 14, v254
	.loc	1 31 20                         ; matmul.py:31:20
	s_mov_b32 s2, exec_lo
	s_delay_alu instid0(VALU_DEP_1)
	.loc	1 31 51                         ; matmul.py:31:51
	v_cmpx_gt_i32_e64 s6, v161
	.loc	1 31 20                         ; matmul.py:31:20
	s_cbranch_execz .LBB0_67
; %bb.99:                               ;   in Loop: Header=BB0_68 Depth=1
	.loc	1 29 22 is_stmt 1               ; matmul.py:29:22
	v_add_co_u32 v161, vcc_lo, s7, v251
	s_delay_alu instid0(VALU_DEP_1)
	v_add_co_ci_u32_e64 v162, null, s16, v252, vcc_lo
	.loc	1 31 20                         ; matmul.py:31:20
	global_load_b32 v179, v[161:162], off
	s_branch .LBB0_67
.LBB0_100:
	.loc	1 0 20 is_stmt 0                ; matmul.py:0:20
	v_and_b32_e32 v185, 15, v0
.LBB0_101:                              ; %Flow273
	s_load_b64 s[2:3], s[0:1], 0x34
	v_and_b32_e32 v177, 64, v0
	.loc	1 32 35 is_stmt 1               ; matmul.py:32:35
	s_and_not1_b32 vcc_lo, exec_lo, s19
	.loc	1 30 20                         ; matmul.py:30:20
	s_waitcnt lgkmcnt(0)
	s_waitcnt_vscnt null, 0x0
	s_barrier
	buffer_gl0_inv
	s_cbranch_vccnz .LBB0_103
; %bb.102:
	v_and_b32_e32 v33, 0x70, v0
	.loc	1 31 20                         ; matmul.py:31:20
	v_lshl_add_u32 v65, v185, 4, 0
	s_delay_alu instid0(VALU_DEP_2)
	.loc	1 30 20                         ; matmul.py:30:20
	v_lshl_add_u32 v222, v33, 4, 0
	ds_load_b128 v[206:209], v222 offset:144
	ds_load_b128 v[210:213], v222 offset:128
	;; [unrolled: 1-line block ×3, first 2 shown]
	ds_load_b128 v[178:181], v222
	.loc	1 31 20                         ; matmul.py:31:20
	ds_load_b128 v[97:100], v65 offset:4096
	ds_load_b128 v[93:96], v65 offset:4352
	;; [unrolled: 1-line block ×14, first 2 shown]
	.loc	1 30 20                         ; matmul.py:30:20
	ds_load_b128 v[182:185], v222 offset:16
	.loc	1 31 20                         ; matmul.py:31:20
	ds_load_b128 v[109:112], v65 offset:5376
	ds_load_b128 v[113:116], v65 offset:5120
	.loc	1 30 20                         ; matmul.py:30:20
	ds_load_b128 v[65:68], v222 offset:2288
	ds_load_b128 v[85:88], v222 offset:2272
	;; [unrolled: 1-line block ×27, first 2 shown]
	.loc	1 32 35                         ; matmul.py:32:35
	s_waitcnt lgkmcnt(43)
	v_fmac_f32_e32 v30, v210, v97
	v_fmac_f32_e32 v21, v178, v98
	;; [unrolled: 1-line block ×5, first 2 shown]
	s_waitcnt lgkmcnt(42)
	v_fmac_f32_e32 v30, v211, v93
	v_fmac_f32_e32 v21, v179, v94
	;; [unrolled: 1-line block ×4, first 2 shown]
	v_dual_fmac_f32 v29, v179, v93 :: v_dual_fmac_f32 v14, v210, v99
	s_waitcnt lgkmcnt(36)
	v_fmac_f32_e32 v21, v180, v90
	v_fmac_f32_e32 v30, v212, v89
	;; [unrolled: 1-line block ×3, first 2 shown]
	v_dual_fmac_f32 v29, v180, v89 :: v_dual_fmac_f32 v14, v211, v95
	s_delay_alu instid0(VALU_DEP_4) | instskip(NEXT) | instid1(VALU_DEP_4)
	v_fmac_f32_e32 v21, v181, v82
	v_fmac_f32_e32 v30, v213, v81
	s_delay_alu instid0(VALU_DEP_4) | instskip(NEXT) | instid1(VALU_DEP_4)
	v_fmac_f32_e32 v6, v213, v84
	v_dual_fmac_f32 v29, v181, v81 :: v_dual_fmac_f32 v22, v212, v90
	s_waitcnt lgkmcnt(27)
	v_fmac_f32_e32 v21, v182, v114
	v_fmac_f32_e32 v30, v206, v113
	;; [unrolled: 1-line block ×4, first 2 shown]
	v_dual_fmac_f32 v29, v182, v113 :: v_dual_fmac_f32 v14, v212, v91
	v_fmac_f32_e32 v21, v183, v110
	v_fmac_f32_e32 v30, v207, v109
	;; [unrolled: 1-line block ×4, first 2 shown]
	s_waitcnt lgkmcnt(18)
	v_fmac_f32_e32 v17, v194, v98
	v_fmac_f32_e32 v21, v184, v78
	v_dual_fmac_f32 v9, v194, v99 :: v_dual_fmac_f32 v6, v208, v80
	s_delay_alu instid0(VALU_DEP_3) | instskip(NEXT) | instid1(VALU_DEP_3)
	v_dual_fmac_f32 v30, v208, v77 :: v_dual_fmac_f32 v17, v195, v94
	v_fmac_f32_e32 v21, v185, v70
	v_dual_fmac_f32 v29, v183, v109 :: v_dual_fmac_f32 v22, v213, v82
	s_delay_alu instid0(VALU_DEP_3) | instskip(NEXT) | instid1(VALU_DEP_3)
	v_fmac_f32_e32 v30, v209, v69
	v_dual_fmac_f32 v6, v209, v72 :: v_dual_fmac_f32 v21, v186, v62
	v_fmac_f32_e32 v9, v195, v95
	s_delay_alu instid0(VALU_DEP_4) | instskip(SKIP_1) | instid1(VALU_DEP_3)
	v_dual_fmac_f32 v29, v184, v77 :: v_dual_fmac_f32 v14, v213, v83
	s_waitcnt lgkmcnt(14)
	v_dual_fmac_f32 v30, v202, v61 :: v_dual_fmac_f32 v21, v187, v58
	v_dual_fmac_f32 v6, v202, v64 :: v_dual_fmac_f32 v13, v180, v91
	s_delay_alu instid0(VALU_DEP_3) | instskip(NEXT) | instid1(VALU_DEP_3)
	v_dual_fmac_f32 v29, v185, v69 :: v_dual_fmac_f32 v22, v206, v114
	v_dual_fmac_f32 v21, v188, v54 :: v_dual_fmac_f32 v30, v203, v57
	s_delay_alu instid0(VALU_DEP_3) | instskip(NEXT) | instid1(VALU_DEP_3)
	v_dual_fmac_f32 v6, v203, v60 :: v_dual_fmac_f32 v13, v181, v83
	v_dual_fmac_f32 v29, v186, v61 :: v_dual_fmac_f32 v22, v207, v110
	v_fmac_f32_e32 v25, v194, v97
	s_delay_alu instid0(VALU_DEP_4) | instskip(NEXT) | instid1(VALU_DEP_4)
	v_dual_fmac_f32 v21, v189, v50 :: v_dual_fmac_f32 v30, v204, v53
	v_fmac_f32_e32 v6, v204, v56
	v_fmac_f32_e32 v17, v196, v90
	v_dual_fmac_f32 v29, v187, v57 :: v_dual_fmac_f32 v14, v206, v115
	v_dual_fmac_f32 v5, v178, v100 :: v_dual_fmac_f32 v22, v208, v78
	;; [unrolled: 1-line block ×3, first 2 shown]
	v_fmac_f32_e32 v6, v205, v52
	s_delay_alu instid0(VALU_DEP_4) | instskip(NEXT) | instid1(VALU_DEP_4)
	v_dual_fmac_f32 v17, v197, v82 :: v_dual_fmac_f32 v14, v207, v111
	v_dual_fmac_f32 v29, v188, v53 :: v_dual_fmac_f32 v22, v209, v70
	v_fmac_f32_e32 v5, v179, v96
	v_dual_fmac_f32 v21, v215, v42 :: v_dual_fmac_f32 v30, v198, v45
	v_fmac_f32_e32 v6, v198, v48
	s_delay_alu instid0(VALU_DEP_4) | instskip(SKIP_1) | instid1(VALU_DEP_2)
	v_dual_fmac_f32 v14, v208, v79 :: v_dual_fmac_f32 v29, v189, v49
	v_dual_fmac_f32 v22, v202, v62 :: v_dual_fmac_f32 v25, v195, v93
	;; [unrolled: 1-line block ×3, first 2 shown]
	s_delay_alu instid0(VALU_DEP_2) | instskip(SKIP_1) | instid1(VALU_DEP_3)
	v_dual_fmac_f32 v29, v214, v45 :: v_dual_fmac_f32 v22, v203, v58
	v_fmac_f32_e32 v5, v180, v92
	v_dual_fmac_f32 v21, v217, v34 :: v_dual_fmac_f32 v14, v202, v63
	v_fmac_f32_e32 v25, v196, v89
	s_delay_alu instid0(VALU_DEP_4) | instskip(SKIP_1) | instid1(VALU_DEP_4)
	v_dual_fmac_f32 v29, v215, v41 :: v_dual_fmac_f32 v22, v204, v54
	v_fmac_f32_e32 v9, v196, v91
	v_dual_fmac_f32 v14, v203, v59 :: v_dual_fmac_f32 v5, v181, v84
	v_fmac_f32_e32 v30, v199, v41
	s_delay_alu instid0(VALU_DEP_4) | instskip(SKIP_2) | instid1(VALU_DEP_4)
	v_fmac_f32_e32 v22, v205, v50
	v_fmac_f32_e32 v25, v197, v81
	;; [unrolled: 1-line block ×3, first 2 shown]
	v_dual_fmac_f32 v17, v190, v114 :: v_dual_fmac_f32 v30, v200, v37
	v_fmac_f32_e32 v14, v204, v55
	v_dual_fmac_f32 v29, v216, v37 :: v_dual_fmac_f32 v22, v198, v46
	v_fmac_f32_e32 v13, v182, v115
	v_dual_fmac_f32 v25, v190, v113 :: v_dual_fmac_f32 v6, v199, v44
	v_dual_fmac_f32 v17, v191, v110 :: v_dual_fmac_f32 v30, v201, v33
	v_fmac_f32_e32 v14, v205, v51
	v_dual_fmac_f32 v29, v217, v33 :: v_dual_fmac_f32 v22, v199, v42
	v_fmac_f32_e32 v9, v190, v115
	v_dual_fmac_f32 v13, v183, v111 :: v_dual_fmac_f32 v6, v200, v40
	v_dual_fmac_f32 v17, v192, v78 :: v_dual_fmac_f32 v10, v173, v99
	v_fmac_f32_e32 v14, v198, v47
	v_fmac_f32_e32 v5, v182, v116
	s_delay_alu instid0(VALU_DEP_4)
	v_dual_fmac_f32 v13, v184, v79 :: v_dual_fmac_f32 v26, v173, v97
	v_dual_fmac_f32 v22, v200, v38 :: v_dual_fmac_f32 v25, v191, v109
	v_dual_fmac_f32 v9, v191, v111 :: v_dual_fmac_f32 v6, v201, v36
	v_fmac_f32_e32 v14, v199, v43
	v_fmac_f32_e32 v5, v183, v112
	v_dual_fmac_f32 v13, v185, v71 :: v_dual_fmac_f32 v26, v174, v93
	s_delay_alu instid0(VALU_DEP_4) | instskip(SKIP_2) | instid1(VALU_DEP_3)
	v_dual_fmac_f32 v9, v192, v79 :: v_dual_fmac_f32 v2, v173, v100
	v_dual_fmac_f32 v22, v201, v34 :: v_dual_fmac_f32 v25, v192, v77
	v_fmac_f32_e32 v18, v173, v98
	v_dual_fmac_f32 v17, v193, v70 :: v_dual_fmac_f32 v2, v174, v96
	v_fmac_f32_e32 v14, v200, v39
	v_fmac_f32_e32 v5, v184, v80
	v_dual_fmac_f32 v9, v193, v71 :: v_dual_fmac_f32 v26, v175, v89
	v_dual_fmac_f32 v25, v193, v69 :: v_dual_fmac_f32 v10, v174, v95
	s_waitcnt lgkmcnt(0)
	v_dual_fmac_f32 v17, v222, v62 :: v_dual_fmac_f32 v14, v201, v35
	v_dual_fmac_f32 v5, v185, v72 :: v_dual_fmac_f32 v18, v174, v94
	;; [unrolled: 1-line block ×4, first 2 shown]
	s_delay_alu instid0(VALU_DEP_4) | instskip(NEXT) | instid1(VALU_DEP_4)
	v_fmac_f32_e32 v17, v223, v58
	v_dual_fmac_f32 v18, v175, v90 :: v_dual_fmac_f32 v5, v186, v64
	v_fmac_f32_e32 v10, v175, v91
	v_fmac_f32_e32 v9, v222, v63
	v_dual_fmac_f32 v13, v187, v59 :: v_dual_fmac_f32 v2, v176, v84
	v_fmac_f32_e32 v26, v169, v113
	v_dual_fmac_f32 v18, v176, v82 :: v_dual_fmac_f32 v5, v187, v60
	v_dual_fmac_f32 v10, v176, v83 :: v_dual_fmac_f32 v25, v223, v57
	s_delay_alu instid0(VALU_DEP_4) | instskip(NEXT) | instid1(VALU_DEP_4)
	v_dual_fmac_f32 v9, v223, v59 :: v_dual_fmac_f32 v2, v169, v116
	v_dual_fmac_f32 v13, v188, v55 :: v_dual_fmac_f32 v26, v170, v109
	s_delay_alu instid0(VALU_DEP_4) | instskip(NEXT) | instid1(VALU_DEP_4)
	v_dual_fmac_f32 v18, v169, v114 :: v_dual_fmac_f32 v5, v188, v56
	v_dual_fmac_f32 v10, v169, v115 :: v_dual_fmac_f32 v25, v224, v53
	v_fmac_f32_e32 v17, v224, v54
	v_dual_fmac_f32 v9, v224, v55 :: v_dual_fmac_f32 v2, v170, v112
	v_dual_fmac_f32 v13, v189, v51 :: v_dual_fmac_f32 v26, v171, v77
	;; [unrolled: 1-line block ×3, first 2 shown]
	s_delay_alu instid0(VALU_DEP_3) | instskip(SKIP_2) | instid1(VALU_DEP_4)
	v_fmac_f32_e32 v9, v225, v51
	v_dual_fmac_f32 v10, v170, v111 :: v_dual_fmac_f32 v17, v225, v50
	v_fmac_f32_e32 v2, v171, v80
	v_fmac_f32_e32 v18, v171, v78
	;; [unrolled: 1-line block ×3, first 2 shown]
	s_delay_alu instid0(VALU_DEP_4) | instskip(NEXT) | instid1(VALU_DEP_3)
	v_dual_fmac_f32 v25, v225, v49 :: v_dual_fmac_f32 v10, v171, v79
	v_dual_fmac_f32 v13, v214, v47 :: v_dual_fmac_f32 v18, v172, v70
	s_delay_alu instid0(VALU_DEP_3) | instskip(NEXT) | instid1(VALU_DEP_3)
	v_dual_fmac_f32 v17, v218, v46 :: v_dual_fmac_f32 v26, v165, v61
	v_dual_fmac_f32 v5, v214, v48 :: v_dual_fmac_f32 v10, v172, v71
	s_delay_alu instid0(VALU_DEP_4) | instskip(NEXT) | instid1(VALU_DEP_4)
	v_dual_fmac_f32 v25, v218, v45 :: v_dual_fmac_f32 v2, v172, v72
	v_dual_fmac_f32 v9, v218, v47 :: v_dual_fmac_f32 v18, v165, v62
	v_fmac_f32_e32 v13, v215, v43
	v_dual_fmac_f32 v17, v219, v42 :: v_dual_fmac_f32 v26, v166, v57
	v_dual_fmac_f32 v5, v215, v44 :: v_dual_fmac_f32 v10, v165, v63
	s_delay_alu instid0(VALU_DEP_4) | instskip(NEXT) | instid1(VALU_DEP_4)
	v_dual_fmac_f32 v25, v219, v41 :: v_dual_fmac_f32 v18, v166, v58
	v_dual_fmac_f32 v2, v165, v64 :: v_dual_fmac_f32 v13, v216, v39
	s_delay_alu instid0(VALU_DEP_3) | instskip(NEXT) | instid1(VALU_DEP_3)
	v_dual_fmac_f32 v26, v167, v53 :: v_dual_fmac_f32 v5, v216, v40
	v_dual_fmac_f32 v10, v166, v59 :: v_dual_fmac_f32 v25, v220, v37
	s_delay_alu instid0(VALU_DEP_3) | instskip(NEXT) | instid1(VALU_DEP_3)
	;; [unrolled: 3-line block ×3, first 2 shown]
	v_dual_fmac_f32 v17, v220, v38 :: v_dual_fmac_f32 v10, v167, v55
	v_dual_fmac_f32 v5, v217, v36 :: v_dual_fmac_f32 v18, v168, v50
	s_delay_alu instid0(VALU_DEP_3) | instskip(SKIP_1) | instid1(VALU_DEP_4)
	v_dual_fmac_f32 v26, v161, v45 :: v_dual_fmac_f32 v1, v195, v96
	v_dual_fmac_f32 v9, v219, v43 :: v_dual_fmac_f32 v2, v166, v60
	;; [unrolled: 1-line block ×3, first 2 shown]
	s_delay_alu instid0(VALU_DEP_3) | instskip(NEXT) | instid1(VALU_DEP_3)
	v_dual_fmac_f32 v18, v161, v46 :: v_dual_fmac_f32 v1, v196, v92
	v_dual_fmac_f32 v9, v220, v39 :: v_dual_fmac_f32 v2, v167, v56
	s_delay_alu instid0(VALU_DEP_3) | instskip(NEXT) | instid1(VALU_DEP_3)
	v_fmac_f32_e32 v10, v161, v47
	v_dual_fmac_f32 v26, v162, v41 :: v_dual_fmac_f32 v1, v197, v84
	s_delay_alu instid0(VALU_DEP_3) | instskip(NEXT) | instid1(VALU_DEP_3)
	v_dual_fmac_f32 v18, v162, v42 :: v_dual_fmac_f32 v9, v221, v35
	v_fmac_f32_e32 v10, v162, v43
	s_delay_alu instid0(VALU_DEP_3) | instskip(NEXT) | instid1(VALU_DEP_3)
	v_dual_fmac_f32 v26, v163, v37 :: v_dual_fmac_f32 v1, v190, v116
	v_fmac_f32_e32 v18, v163, v38
	v_dual_fmac_f32 v17, v221, v34 :: v_dual_fmac_f32 v2, v168, v52
	s_delay_alu instid0(VALU_DEP_4) | instskip(NEXT) | instid1(VALU_DEP_4)
	v_fmac_f32_e32 v10, v163, v39
	v_dual_fmac_f32 v1, v191, v112 :: v_dual_fmac_f32 v26, v164, v33
	s_delay_alu instid0(VALU_DEP_4) | instskip(NEXT) | instid1(VALU_DEP_4)
	v_fmac_f32_e32 v18, v164, v34
	v_fmac_f32_e32 v2, v161, v48
	;; [unrolled: 1-line block ×3, first 2 shown]
	s_delay_alu instid0(VALU_DEP_4) | instskip(SKIP_1) | instid1(VALU_DEP_4)
	v_dual_fmac_f32 v1, v192, v80 :: v_dual_fmac_f32 v32, v125, v97
	v_fmac_f32_e32 v10, v164, v35
	v_fmac_f32_e32 v2, v162, v44
	s_delay_alu instid0(VALU_DEP_4) | instskip(NEXT) | instid1(VALU_DEP_4)
	v_fmac_f32_e32 v31, v158, v93
	v_fmac_f32_e32 v1, v193, v72
	;; [unrolled: 1-line block ×12, first 2 shown]
	v_dual_fmac_f32 v23, v157, v98 :: v_dual_fmac_f32 v32, v127, v89
	s_delay_alu instid0(VALU_DEP_3) | instskip(NEXT) | instid1(VALU_DEP_3)
	v_dual_fmac_f32 v24, v126, v94 :: v_dual_fmac_f32 v31, v153, v113
	v_fmac_f32_e32 v1, v224, v56
	s_delay_alu instid0(VALU_DEP_3) | instskip(NEXT) | instid1(VALU_DEP_3)
	v_dual_fmac_f32 v15, v157, v99 :: v_dual_fmac_f32 v32, v128, v81
	v_dual_fmac_f32 v24, v127, v90 :: v_dual_fmac_f32 v31, v154, v109
	s_delay_alu instid0(VALU_DEP_3) | instskip(NEXT) | instid1(VALU_DEP_3)
	v_dual_fmac_f32 v16, v127, v91 :: v_dual_fmac_f32 v1, v225, v52
	v_dual_fmac_f32 v23, v158, v94 :: v_dual_fmac_f32 v32, v117, v113
	s_delay_alu instid0(VALU_DEP_3) | instskip(NEXT) | instid1(VALU_DEP_3)
	v_dual_fmac_f32 v31, v155, v77 :: v_dual_fmac_f32 v24, v128, v82
	v_fmac_f32_e32 v1, v218, v48
	s_delay_alu instid0(VALU_DEP_3) | instskip(NEXT) | instid1(VALU_DEP_3)
	v_dual_fmac_f32 v7, v157, v100 :: v_dual_fmac_f32 v32, v118, v109
	v_dual_fmac_f32 v31, v156, v69 :: v_dual_fmac_f32 v24, v117, v114
	s_delay_alu instid0(VALU_DEP_3) | instskip(NEXT) | instid1(VALU_DEP_3)
	v_fmac_f32_e32 v1, v219, v44
	v_dual_fmac_f32 v19, v141, v98 :: v_dual_fmac_f32 v32, v119, v77
	s_delay_alu instid0(VALU_DEP_3) | instskip(NEXT) | instid1(VALU_DEP_3)
	v_dual_fmac_f32 v31, v149, v61 :: v_dual_fmac_f32 v16, v128, v83
	v_fmac_f32_e32 v1, v220, v40
	s_delay_alu instid0(VALU_DEP_3) | instskip(NEXT) | instid1(VALU_DEP_3)
	v_dual_fmac_f32 v15, v158, v95 :: v_dual_fmac_f32 v32, v120, v69
	v_dual_fmac_f32 v31, v150, v57 :: v_dual_fmac_f32 v16, v117, v115
	s_delay_alu instid0(VALU_DEP_3) | instskip(NEXT) | instid1(VALU_DEP_3)
	v_fmac_f32_e32 v1, v221, v36
	v_dual_fmac_f32 v7, v158, v96 :: v_dual_fmac_f32 v32, v101, v61
	s_delay_alu instid0(VALU_DEP_3) | instskip(NEXT) | instid1(VALU_DEP_4)
	v_dual_fmac_f32 v31, v151, v53 :: v_dual_fmac_f32 v24, v118, v110
	v_dual_fmac_f32 v23, v159, v90 :: v_dual_fmac_f32 v16, v118, v111
	s_delay_alu instid0(VALU_DEP_3) | instskip(NEXT) | instid1(VALU_DEP_3)
	v_fmac_f32_e32 v32, v102, v57
	v_dual_fmac_f32 v31, v152, v49 :: v_dual_fmac_f32 v24, v119, v78
	s_delay_alu instid0(VALU_DEP_3) | instskip(SKIP_1) | instid1(VALU_DEP_3)
	v_dual_fmac_f32 v23, v160, v82 :: v_dual_fmac_f32 v16, v119, v79
	v_fmac_f32_e32 v27, v141, v97
	v_dual_fmac_f32 v31, v145, v45 :: v_dual_fmac_f32 v24, v120, v70
	v_fmac_f32_e32 v32, v103, v53
	s_delay_alu instid0(VALU_DEP_3) | instskip(NEXT) | instid1(VALU_DEP_3)
	v_dual_fmac_f32 v16, v120, v71 :: v_dual_fmac_f32 v27, v142, v93
	v_fmac_f32_e32 v31, v146, v41
	v_fmac_f32_e32 v19, v142, v94
	v_dual_fmac_f32 v24, v101, v62 :: v_dual_fmac_f32 v15, v159, v91
	s_delay_alu instid0(VALU_DEP_3) | instskip(NEXT) | instid1(VALU_DEP_2)
	v_dual_fmac_f32 v16, v101, v63 :: v_dual_fmac_f32 v31, v147, v37
	v_dual_fmac_f32 v7, v159, v92 :: v_dual_fmac_f32 v24, v102, v58
	s_delay_alu instid0(VALU_DEP_3) | instskip(SKIP_1) | instid1(VALU_DEP_4)
	v_fmac_f32_e32 v15, v160, v83
	v_dual_fmac_f32 v19, v143, v90 :: v_dual_fmac_f32 v32, v104, v49
	v_dual_fmac_f32 v31, v148, v33 :: v_dual_fmac_f32 v16, v102, v59
	s_delay_alu instid0(VALU_DEP_4) | instskip(SKIP_1) | instid1(VALU_DEP_4)
	v_dual_fmac_f32 v7, v160, v84 :: v_dual_fmac_f32 v24, v103, v54
	v_fmac_f32_e32 v27, v143, v89
	v_dual_fmac_f32 v19, v144, v82 :: v_dual_fmac_f32 v32, v73, v45
	v_fmac_f32_e32 v15, v153, v115
	v_dual_fmac_f32 v16, v103, v55 :: v_dual_fmac_f32 v23, v153, v114
	v_fmac_f32_e32 v24, v104, v50
	v_fmac_f32_e32 v27, v144, v81
	v_dual_fmac_f32 v32, v74, v41 :: v_dual_fmac_f32 v19, v137, v114
	s_delay_alu instid0(VALU_DEP_4) | instskip(NEXT) | instid1(VALU_DEP_4)
	v_dual_fmac_f32 v16, v104, v51 :: v_dual_fmac_f32 v23, v154, v110
	v_fmac_f32_e32 v24, v73, v46
	s_delay_alu instid0(VALU_DEP_3) | instskip(NEXT) | instid1(VALU_DEP_3)
	v_dual_fmac_f32 v7, v153, v116 :: v_dual_fmac_f32 v32, v75, v37
	v_dual_fmac_f32 v19, v138, v110 :: v_dual_fmac_f32 v16, v73, v47
	s_delay_alu instid0(VALU_DEP_3) | instskip(NEXT) | instid1(VALU_DEP_3)
	v_dual_fmac_f32 v27, v137, v113 :: v_dual_fmac_f32 v24, v74, v42
	v_dual_fmac_f32 v15, v154, v111 :: v_dual_fmac_f32 v32, v76, v33
	s_delay_alu instid0(VALU_DEP_3) | instskip(NEXT) | instid1(VALU_DEP_4)
	v_dual_fmac_f32 v19, v139, v78 :: v_dual_fmac_f32 v12, v121, v99
	v_fmac_f32_e32 v16, v74, v43
	s_delay_alu instid0(VALU_DEP_4)
	v_dual_fmac_f32 v7, v154, v112 :: v_dual_fmac_f32 v24, v75, v38
	v_fmac_f32_e32 v27, v138, v109
	v_dual_fmac_f32 v15, v155, v79 :: v_dual_fmac_f32 v8, v125, v100
	v_dual_fmac_f32 v19, v140, v70 :: v_dual_fmac_f32 v12, v122, v95
	v_fmac_f32_e32 v16, v75, v39
	v_fmac_f32_e32 v23, v155, v78
	v_dual_fmac_f32 v7, v155, v80 :: v_dual_fmac_f32 v28, v121, v97
	v_dual_fmac_f32 v24, v76, v34 :: v_dual_fmac_f32 v27, v139, v77
	;; [unrolled: 1-line block ×4, first 2 shown]
	s_delay_alu instid0(VALU_DEP_4)
	v_dual_fmac_f32 v12, v123, v91 :: v_dual_fmac_f32 v7, v156, v72
	v_fmac_f32_e32 v28, v122, v93
	v_fmac_f32_e32 v16, v76, v35
	v_dual_fmac_f32 v23, v156, v70 :: v_dual_fmac_f32 v4, v121, v100
	v_dual_fmac_f32 v27, v140, v69 :: v_dual_fmac_f32 v20, v122, v94
	;; [unrolled: 1-line block ×4, first 2 shown]
	s_delay_alu instid0(VALU_DEP_4) | instskip(SKIP_2) | instid1(VALU_DEP_3)
	v_dual_fmac_f32 v23, v149, v62 :: v_dual_fmac_f32 v4, v122, v96
	v_dual_fmac_f32 v7, v149, v64 :: v_dual_fmac_f32 v28, v123, v89
	;; [unrolled: 1-line block ×4, first 2 shown]
	s_delay_alu instid0(VALU_DEP_3) | instskip(SKIP_1) | instid1(VALU_DEP_4)
	v_dual_fmac_f32 v7, v150, v60 :: v_dual_fmac_f32 v28, v124, v81
	v_dual_fmac_f32 v15, v150, v59 :: v_dual_fmac_f32 v8, v128, v84
	;; [unrolled: 1-line block ×3, first 2 shown]
	s_delay_alu instid0(VALU_DEP_4) | instskip(NEXT) | instid1(VALU_DEP_4)
	v_dual_fmac_f32 v23, v151, v54 :: v_dual_fmac_f32 v4, v124, v84
	v_dual_fmac_f32 v7, v151, v56 :: v_dual_fmac_f32 v28, v105, v113
	s_delay_alu instid0(VALU_DEP_4) | instskip(NEXT) | instid1(VALU_DEP_4)
	v_dual_fmac_f32 v15, v151, v55 :: v_dual_fmac_f32 v8, v117, v116
	v_dual_fmac_f32 v27, v135, v53 :: v_dual_fmac_f32 v20, v105, v114
	;; [unrolled: 3-line block ×5, first 2 shown]
	v_dual_fmac_f32 v19, v135, v54 :: v_dual_fmac_f32 v12, v105, v115
	v_dual_fmac_f32 v15, v145, v47 :: v_dual_fmac_f32 v8, v119, v80
	;; [unrolled: 1-line block ×15, first 2 shown]
	v_fmac_f32_e32 v11, v141, v99
	v_fmac_f32_e32 v3, v141, v100
	v_dual_fmac_f32 v19, v130, v42 :: v_dual_fmac_f32 v12, v108, v71
	v_dual_fmac_f32 v15, v148, v35 :: v_dual_fmac_f32 v8, v102, v60
	;; [unrolled: 1-line block ×3, first 2 shown]
	v_fmac_f32_e32 v4, v86, v60
	s_delay_alu instid0(VALU_DEP_3) | instskip(SKIP_1) | instid1(VALU_DEP_4)
	v_dual_fmac_f32 v11, v142, v95 :: v_dual_fmac_f32 v8, v103, v56
	v_dual_fmac_f32 v28, v87, v53 :: v_dual_fmac_f32 v3, v142, v96
	v_fmac_f32_e32 v20, v87, v54
	v_dual_fmac_f32 v19, v131, v38 :: v_dual_fmac_f32 v12, v85, v63
	s_delay_alu instid0(VALU_DEP_4) | instskip(NEXT) | instid1(VALU_DEP_4)
	v_dual_fmac_f32 v11, v143, v91 :: v_dual_fmac_f32 v8, v104, v52
	v_dual_fmac_f32 v3, v143, v92 :: v_dual_fmac_f32 v28, v88, v49
	s_delay_alu instid0(VALU_DEP_3) | instskip(NEXT) | instid1(VALU_DEP_3)
	v_dual_fmac_f32 v19, v132, v34 :: v_dual_fmac_f32 v12, v86, v59
	v_dual_fmac_f32 v11, v144, v83 :: v_dual_fmac_f32 v4, v87, v56
	s_delay_alu instid0(VALU_DEP_3) | instskip(SKIP_1) | instid1(VALU_DEP_4)
	v_fmac_f32_e32 v3, v144, v84
	v_fmac_f32_e32 v20, v88, v50
	;; [unrolled: 1-line block ×3, first 2 shown]
	s_delay_alu instid0(VALU_DEP_4) | instskip(NEXT) | instid1(VALU_DEP_4)
	v_dual_fmac_f32 v11, v137, v115 :: v_dual_fmac_f32 v4, v88, v52
	v_fmac_f32_e32 v3, v137, v116
	v_fmac_f32_e32 v28, v65, v45
	s_delay_alu instid0(VALU_DEP_4) | instskip(NEXT) | instid1(VALU_DEP_4)
	v_fmac_f32_e32 v12, v88, v51
	v_dual_fmac_f32 v11, v138, v111 :: v_dual_fmac_f32 v8, v73, v48
	s_delay_alu instid0(VALU_DEP_4) | instskip(NEXT) | instid1(VALU_DEP_3)
	v_dual_fmac_f32 v3, v138, v112 :: v_dual_fmac_f32 v20, v65, v46
	v_fmac_f32_e32 v12, v65, v47
	s_delay_alu instid0(VALU_DEP_3) | instskip(NEXT) | instid1(VALU_DEP_3)
	v_dual_fmac_f32 v11, v139, v79 :: v_dual_fmac_f32 v4, v65, v48
	v_fmac_f32_e32 v3, v139, v80
	v_fmac_f32_e32 v8, v74, v44
	s_delay_alu instid0(VALU_DEP_3) | instskip(NEXT) | instid1(VALU_DEP_3)
	v_dual_fmac_f32 v28, v66, v41 :: v_dual_fmac_f32 v11, v140, v71
	v_dual_fmac_f32 v20, v66, v42 :: v_dual_fmac_f32 v3, v140, v72
	s_delay_alu instid0(VALU_DEP_3) | instskip(NEXT) | instid1(VALU_DEP_3)
	v_fmac_f32_e32 v8, v75, v40
	v_dual_fmac_f32 v28, v67, v37 :: v_dual_fmac_f32 v11, v133, v63
	s_delay_alu instid0(VALU_DEP_3) | instskip(SKIP_1) | instid1(VALU_DEP_3)
	v_dual_fmac_f32 v12, v66, v43 :: v_dual_fmac_f32 v3, v133, v64
	v_fmac_f32_e32 v4, v66, v44
	v_dual_fmac_f32 v20, v67, v38 :: v_dual_fmac_f32 v11, v134, v59
	s_delay_alu instid0(VALU_DEP_3) | instskip(NEXT) | instid1(VALU_DEP_3)
	v_dual_fmac_f32 v12, v67, v39 :: v_dual_fmac_f32 v3, v134, v60
	v_fmac_f32_e32 v4, v67, v40
	s_delay_alu instid0(VALU_DEP_3) | instskip(NEXT) | instid1(VALU_DEP_3)
	v_dual_fmac_f32 v8, v76, v36 :: v_dual_fmac_f32 v11, v135, v55
	v_dual_fmac_f32 v28, v68, v33 :: v_dual_fmac_f32 v3, v135, v56
	v_fmac_f32_e32 v20, v68, v34
	v_fmac_f32_e32 v12, v68, v35
	s_delay_alu instid0(VALU_DEP_4) | instskip(SKIP_2) | instid1(VALU_DEP_3)
	v_fmac_f32_e32 v11, v136, v51
	v_fmac_f32_e32 v4, v68, v36
	;; [unrolled: 1-line block ×4, first 2 shown]
	s_delay_alu instid0(VALU_DEP_2) | instskip(NEXT) | instid1(VALU_DEP_2)
	v_fmac_f32_e32 v3, v129, v48
	v_fmac_f32_e32 v11, v130, v43
	s_delay_alu instid0(VALU_DEP_2) | instskip(NEXT) | instid1(VALU_DEP_2)
	v_fmac_f32_e32 v3, v130, v44
	v_fmac_f32_e32 v11, v131, v39
	;; [unrolled: 3-line block ×3, first 2 shown]
	s_delay_alu instid0(VALU_DEP_2)
	v_fmac_f32_e32 v3, v132, v36
.LBB0_103:                              ; %._crit_edge._crit_edge
	.loc	1 41 21                         ; matmul.py:41:21
	v_lshlrev_b32_e32 v33, 4, v0
	v_lshlrev_b32_e32 v34, 8, v0
	v_and_b32_e32 v35, 3, v0
	v_lshlrev_b32_e32 v36, 2, v0
	v_lshlrev_b32_e32 v0, 6, v0
	v_and_b32_e32 v33, 0x770, v33
	s_barrier
	s_delay_alu instid0(VALU_DEP_3) | instskip(NEXT) | instid1(VALU_DEP_3)
	v_and_b32_e32 v36, 0x70, v36
	v_and_b32_e32 v0, 0x800, v0
	s_delay_alu instid0(VALU_DEP_3)
	v_and_or_b32 v33, 0x800, v34, v33
	v_lshlrev_b32_e32 v34, 5, v35
	v_lshlrev_b32_e32 v35, 12, v35
	buffer_gl0_inv
	v_lshlrev_b32_e32 v37, 1, v177
	v_add_nc_u32_e32 v38, 0, v33
	v_xor_b32_e32 v34, v34, v36
	v_xad_u32 v36, v33, 32, 0
	v_xad_u32 v39, v33, 64, 0
	;; [unrolled: 1-line block ×3, first 2 shown]
	ds_store_b128 v38, v[29:32]
	ds_store_b128 v38, v[25:28] offset:128
	v_add3_u32 v0, 0, v35, v0
	ds_store_b128 v36, v[21:24] offset:4096
	ds_store_b128 v36, v[17:20] offset:4224
	;; [unrolled: 1-line block ×6, first 2 shown]
	s_waitcnt lgkmcnt(0)
	s_barrier
	buffer_gl0_inv
	scratch_load_b32 v35, off, off offset:24 ; 4-byte Folded Reload
	v_add3_u32 v0, v0, v37, v34
	ds_load_b128 v[28:31], v0
	ds_load_b128 v[24:27], v0 offset:256
	ds_load_b128 v[20:23], v0 offset:512
	;; [unrolled: 1-line block ×7, first 2 shown]
	.loc	1 22 38                         ; matmul.py:22:38
	v_or_b32_e32 v34, s18, v254
	s_delay_alu instid0(VALU_DEP_1) | instskip(SKIP_4) | instid1(VALU_DEP_2)
	.loc	1 40 33                         ; matmul.py:40:33
	v_cmp_gt_i32_e64 s0, s4, v34
	.loc	1 39 64                         ; matmul.py:39:64
	s_waitcnt vmcnt(0)
	v_mul_lo_u32 v32, v35, s3
	.loc	1 40 58                         ; matmul.py:40:58
	v_cmp_gt_i32_e32 vcc_lo, s5, v35
	.loc	1 40 39 is_stmt 0               ; matmul.py:40:39
	s_and_b32 s0, s0, vcc_lo
	.loc	1 39 52 is_stmt 1               ; matmul.py:39:52
	v_ashrrev_i32_e32 v33, 31, v32
	s_delay_alu instid0(VALU_DEP_1)
	v_lshlrev_b64 v[32:33], 2, v[32:33]
	.loc	1 41 21                         ; matmul.py:41:21
	s_and_saveexec_b32 s1, s0
	s_cbranch_execz .LBB0_105
; %bb.104:
	.loc	1 0 21 is_stmt 0                ; matmul.py:0:21
	v_mul_lo_u32 v35, v34, s2
	s_delay_alu instid0(VALU_DEP_1) | instskip(NEXT) | instid1(VALU_DEP_1)
	v_ashrrev_i32_e32 v36, 31, v35
	v_lshlrev_b64 v[35:36], 2, v[35:36]
	s_delay_alu instid0(VALU_DEP_1) | instskip(NEXT) | instid1(VALU_DEP_1)
	v_add_co_u32 v35, s0, s8, v35
	v_add_co_ci_u32_e64 v36, null, s9, v36, s0
	s_delay_alu instid0(VALU_DEP_2) | instskip(NEXT) | instid1(VALU_DEP_1)
	v_add_co_u32 v35, s0, v35, v32
	v_add_co_ci_u32_e64 v36, null, v36, v33, s0
	.loc	1 41 21                         ; matmul.py:41:21
	s_waitcnt lgkmcnt(7)
	global_store_b32 v[35:36], v28, off
.LBB0_105:
	.loc	1 0 21                          ; matmul.py:0:21
	s_or_b32 exec_lo, exec_lo, s1
	.loc	1 22 38 is_stmt 1               ; matmul.py:22:38
	s_waitcnt lgkmcnt(7)
	scratch_load_b32 v28, off, off offset:28 ; 4-byte Folded Reload
	s_waitcnt vmcnt(0)
	v_or_b32_e32 v28, s18, v28
	s_delay_alu instid0(VALU_DEP_1) | instskip(SKIP_1) | instid1(SALU_CYCLE_1)
	.loc	1 40 33                         ; matmul.py:40:33
	v_cmp_gt_i32_e64 s0, s4, v28
	.loc	1 40 39 is_stmt 0               ; matmul.py:40:39
	s_and_b32 s0, s0, vcc_lo
	.loc	1 41 21 is_stmt 1               ; matmul.py:41:21
	s_and_saveexec_b32 s1, s0
	s_cbranch_execz .LBB0_107
; %bb.106:
	.loc	1 39 33                         ; matmul.py:39:33
	v_mul_lo_u32 v35, v28, s2
	s_delay_alu instid0(VALU_DEP_1) | instskip(NEXT) | instid1(VALU_DEP_1)
	.loc	1 39 21 is_stmt 0               ; matmul.py:39:21
	v_ashrrev_i32_e32 v36, 31, v35
	v_lshlrev_b64 v[35:36], 2, v[35:36]
	s_delay_alu instid0(VALU_DEP_1) | instskip(NEXT) | instid1(VALU_DEP_1)
	v_add_co_u32 v28, s0, s8, v35
	v_add_co_ci_u32_e64 v36, null, s9, v36, s0
	s_delay_alu instid0(VALU_DEP_2) | instskip(NEXT) | instid1(VALU_DEP_1)
	.loc	1 39 52                         ; matmul.py:39:52
	v_add_co_u32 v35, s0, v28, v32
	v_add_co_ci_u32_e64 v36, null, v36, v33, s0
	.loc	1 41 21 is_stmt 1               ; matmul.py:41:21
	global_store_b32 v[35:36], v29, off
.LBB0_107:
	.loc	1 0 21 is_stmt 0                ; matmul.py:0:21
	s_or_b32 exec_lo, exec_lo, s1
	.loc	1 22 38 is_stmt 1               ; matmul.py:22:38
	scratch_load_b32 v28, off, off offset:32 ; 4-byte Folded Reload
	s_waitcnt vmcnt(0)
	v_or_b32_e32 v28, s18, v28
	s_delay_alu instid0(VALU_DEP_1) | instskip(SKIP_1) | instid1(SALU_CYCLE_1)
	.loc	1 40 33                         ; matmul.py:40:33
	v_cmp_gt_i32_e64 s0, s4, v28
	.loc	1 40 39 is_stmt 0               ; matmul.py:40:39
	s_and_b32 s0, s0, vcc_lo
	.loc	1 41 21 is_stmt 1               ; matmul.py:41:21
	s_and_saveexec_b32 s1, s0
	s_cbranch_execz .LBB0_109
; %bb.108:
	.loc	1 39 33                         ; matmul.py:39:33
	v_mul_lo_u32 v28, v28, s2
	s_delay_alu instid0(VALU_DEP_1) | instskip(NEXT) | instid1(VALU_DEP_1)
	.loc	1 39 21 is_stmt 0               ; matmul.py:39:21
	v_ashrrev_i32_e32 v29, 31, v28
	v_lshlrev_b64 v[28:29], 2, v[28:29]
	s_delay_alu instid0(VALU_DEP_1) | instskip(NEXT) | instid1(VALU_DEP_1)
	v_add_co_u32 v28, s0, s8, v28
	v_add_co_ci_u32_e64 v29, null, s9, v29, s0
	s_delay_alu instid0(VALU_DEP_2) | instskip(NEXT) | instid1(VALU_DEP_1)
	.loc	1 39 52                         ; matmul.py:39:52
	v_add_co_u32 v28, s0, v28, v32
	v_add_co_ci_u32_e64 v29, null, v29, v33, s0
	.loc	1 41 21 is_stmt 1               ; matmul.py:41:21
	s_waitcnt lgkmcnt(6)
	global_store_b32 v[28:29], v24, off
.LBB0_109:
	.loc	1 0 21 is_stmt 0                ; matmul.py:0:21
	s_or_b32 exec_lo, exec_lo, s1
	.loc	1 22 38 is_stmt 1               ; matmul.py:22:38
	s_waitcnt lgkmcnt(6)
	scratch_load_b32 v24, off, off offset:36 ; 4-byte Folded Reload
	s_waitcnt vmcnt(0)
	v_or_b32_e32 v24, s18, v24
	s_delay_alu instid0(VALU_DEP_1) | instskip(SKIP_1) | instid1(SALU_CYCLE_1)
	.loc	1 40 33                         ; matmul.py:40:33
	v_cmp_gt_i32_e64 s0, s4, v24
	.loc	1 40 39 is_stmt 0               ; matmul.py:40:39
	s_and_b32 s0, s0, vcc_lo
	.loc	1 41 21 is_stmt 1               ; matmul.py:41:21
	s_and_saveexec_b32 s1, s0
	s_cbranch_execz .LBB0_111
; %bb.110:
	.loc	1 39 33                         ; matmul.py:39:33
	v_mul_lo_u32 v28, v24, s2
	s_delay_alu instid0(VALU_DEP_1) | instskip(NEXT) | instid1(VALU_DEP_1)
	.loc	1 39 21 is_stmt 0               ; matmul.py:39:21
	v_ashrrev_i32_e32 v29, 31, v28
	v_lshlrev_b64 v[28:29], 2, v[28:29]
	s_delay_alu instid0(VALU_DEP_1) | instskip(NEXT) | instid1(VALU_DEP_1)
	v_add_co_u32 v24, s0, s8, v28
	v_add_co_ci_u32_e64 v29, null, s9, v29, s0
	s_delay_alu instid0(VALU_DEP_2) | instskip(NEXT) | instid1(VALU_DEP_1)
	.loc	1 39 52                         ; matmul.py:39:52
	v_add_co_u32 v28, s0, v24, v32
	v_add_co_ci_u32_e64 v29, null, v29, v33, s0
	.loc	1 41 21 is_stmt 1               ; matmul.py:41:21
	global_store_b32 v[28:29], v25, off
.LBB0_111:
	.loc	1 0 21 is_stmt 0                ; matmul.py:0:21
	s_or_b32 exec_lo, exec_lo, s1
	.loc	1 22 38 is_stmt 1               ; matmul.py:22:38
	scratch_load_b32 v24, off, off offset:40 ; 4-byte Folded Reload
	s_waitcnt vmcnt(0)
	v_or_b32_e32 v24, s18, v24
	s_delay_alu instid0(VALU_DEP_1) | instskip(SKIP_1) | instid1(SALU_CYCLE_1)
	.loc	1 40 33                         ; matmul.py:40:33
	v_cmp_gt_i32_e64 s0, s4, v24
	.loc	1 40 39 is_stmt 0               ; matmul.py:40:39
	s_and_b32 s0, s0, vcc_lo
	.loc	1 41 21 is_stmt 1               ; matmul.py:41:21
	s_and_saveexec_b32 s1, s0
	s_cbranch_execz .LBB0_113
; %bb.112:
	.loc	1 39 33                         ; matmul.py:39:33
	v_mul_lo_u32 v24, v24, s2
	s_delay_alu instid0(VALU_DEP_1) | instskip(NEXT) | instid1(VALU_DEP_1)
	.loc	1 39 21 is_stmt 0               ; matmul.py:39:21
	v_ashrrev_i32_e32 v25, 31, v24
	v_lshlrev_b64 v[24:25], 2, v[24:25]
	s_delay_alu instid0(VALU_DEP_1) | instskip(NEXT) | instid1(VALU_DEP_1)
	v_add_co_u32 v24, s0, s8, v24
	v_add_co_ci_u32_e64 v25, null, s9, v25, s0
	s_delay_alu instid0(VALU_DEP_2) | instskip(NEXT) | instid1(VALU_DEP_1)
	.loc	1 39 52                         ; matmul.py:39:52
	v_add_co_u32 v24, s0, v24, v32
	v_add_co_ci_u32_e64 v25, null, v25, v33, s0
	.loc	1 41 21 is_stmt 1               ; matmul.py:41:21
	s_waitcnt lgkmcnt(5)
	global_store_b32 v[24:25], v20, off
.LBB0_113:
	.loc	1 0 21 is_stmt 0                ; matmul.py:0:21
	;; [unrolled: 64-line block ×3, first 2 shown]
	s_or_b32 exec_lo, exec_lo, s1
	.loc	1 22 38 is_stmt 1               ; matmul.py:22:38
	s_waitcnt lgkmcnt(4)
	scratch_load_b32 v16, off, off offset:52 ; 4-byte Folded Reload
	s_waitcnt vmcnt(0)
	v_or_b32_e32 v16, s18, v16
	s_delay_alu instid0(VALU_DEP_1) | instskip(SKIP_1) | instid1(SALU_CYCLE_1)
	.loc	1 40 33                         ; matmul.py:40:33
	v_cmp_gt_i32_e64 s0, s4, v16
	.loc	1 40 39 is_stmt 0               ; matmul.py:40:39
	s_and_b32 s0, s0, vcc_lo
	.loc	1 41 21 is_stmt 1               ; matmul.py:41:21
	s_and_saveexec_b32 s1, s0
	s_cbranch_execz .LBB0_119
; %bb.118:
	.loc	1 39 33                         ; matmul.py:39:33
	v_mul_lo_u32 v20, v16, s2
	s_delay_alu instid0(VALU_DEP_1) | instskip(NEXT) | instid1(VALU_DEP_1)
	.loc	1 39 21 is_stmt 0               ; matmul.py:39:21
	v_ashrrev_i32_e32 v21, 31, v20
	v_lshlrev_b64 v[20:21], 2, v[20:21]
	s_delay_alu instid0(VALU_DEP_1) | instskip(NEXT) | instid1(VALU_DEP_1)
	v_add_co_u32 v16, s0, s8, v20
	v_add_co_ci_u32_e64 v21, null, s9, v21, s0
	s_delay_alu instid0(VALU_DEP_2) | instskip(NEXT) | instid1(VALU_DEP_1)
	.loc	1 39 52                         ; matmul.py:39:52
	v_add_co_u32 v20, s0, v16, v32
	v_add_co_ci_u32_e64 v21, null, v21, v33, s0
	.loc	1 41 21 is_stmt 1               ; matmul.py:41:21
	global_store_b32 v[20:21], v17, off
.LBB0_119:
	.loc	1 0 21 is_stmt 0                ; matmul.py:0:21
	s_or_b32 exec_lo, exec_lo, s1
	.loc	1 22 38 is_stmt 1               ; matmul.py:22:38
	v_or_b32_e32 v16, 16, v34
	s_delay_alu instid0(VALU_DEP_1) | instskip(SKIP_1) | instid1(SALU_CYCLE_1)
	.loc	1 40 33                         ; matmul.py:40:33
	v_cmp_gt_i32_e64 s0, s4, v16
	.loc	1 40 39 is_stmt 0               ; matmul.py:40:39
	s_and_b32 s0, s0, vcc_lo
	.loc	1 41 21 is_stmt 1               ; matmul.py:41:21
	s_and_saveexec_b32 s1, s0
	s_cbranch_execz .LBB0_121
; %bb.120:
	.loc	1 39 33                         ; matmul.py:39:33
	v_mul_lo_u32 v16, s2, v16
	s_delay_alu instid0(VALU_DEP_1) | instskip(NEXT) | instid1(VALU_DEP_1)
	.loc	1 39 21 is_stmt 0               ; matmul.py:39:21
	v_ashrrev_i32_e32 v17, 31, v16
	v_lshlrev_b64 v[16:17], 2, v[16:17]
	s_delay_alu instid0(VALU_DEP_1) | instskip(NEXT) | instid1(VALU_DEP_1)
	v_add_co_u32 v16, s0, s8, v16
	v_add_co_ci_u32_e64 v17, null, s9, v17, s0
	s_delay_alu instid0(VALU_DEP_2) | instskip(NEXT) | instid1(VALU_DEP_1)
	.loc	1 39 52                         ; matmul.py:39:52
	v_add_co_u32 v16, s0, v16, v32
	v_add_co_ci_u32_e64 v17, null, v17, v33, s0
	.loc	1 41 21 is_stmt 1               ; matmul.py:41:21
	s_waitcnt lgkmcnt(3)
	global_store_b32 v[16:17], v12, off
.LBB0_121:
	.loc	1 0 21 is_stmt 0                ; matmul.py:0:21
	s_or_b32 exec_lo, exec_lo, s1
	.loc	1 22 38 is_stmt 1               ; matmul.py:22:38
	s_waitcnt lgkmcnt(3)
	v_or_b32_e32 v12, 18, v34
	s_delay_alu instid0(VALU_DEP_1) | instskip(SKIP_1) | instid1(SALU_CYCLE_1)
	.loc	1 40 33                         ; matmul.py:40:33
	v_cmp_gt_i32_e64 s0, s4, v12
	.loc	1 40 39 is_stmt 0               ; matmul.py:40:39
	s_and_b32 s0, s0, vcc_lo
	.loc	1 41 21 is_stmt 1               ; matmul.py:41:21
	s_and_saveexec_b32 s1, s0
	s_cbranch_execz .LBB0_123
; %bb.122:
	.loc	1 39 33                         ; matmul.py:39:33
	v_mul_lo_u32 v16, s2, v12
	s_delay_alu instid0(VALU_DEP_1) | instskip(NEXT) | instid1(VALU_DEP_1)
	.loc	1 39 21 is_stmt 0               ; matmul.py:39:21
	v_ashrrev_i32_e32 v17, 31, v16
	v_lshlrev_b64 v[16:17], 2, v[16:17]
	s_delay_alu instid0(VALU_DEP_1) | instskip(NEXT) | instid1(VALU_DEP_1)
	v_add_co_u32 v12, s0, s8, v16
	v_add_co_ci_u32_e64 v17, null, s9, v17, s0
	s_delay_alu instid0(VALU_DEP_2) | instskip(NEXT) | instid1(VALU_DEP_1)
	.loc	1 39 52                         ; matmul.py:39:52
	v_add_co_u32 v16, s0, v12, v32
	v_add_co_ci_u32_e64 v17, null, v17, v33, s0
	.loc	1 41 21 is_stmt 1               ; matmul.py:41:21
	global_store_b32 v[16:17], v13, off
.LBB0_123:
	.loc	1 0 21 is_stmt 0                ; matmul.py:0:21
	s_or_b32 exec_lo, exec_lo, s1
	.loc	1 22 38 is_stmt 1               ; matmul.py:22:38
	v_or_b32_e32 v12, 20, v34
	s_delay_alu instid0(VALU_DEP_1) | instskip(SKIP_1) | instid1(SALU_CYCLE_1)
	.loc	1 40 33                         ; matmul.py:40:33
	v_cmp_gt_i32_e64 s0, s4, v12
	.loc	1 40 39 is_stmt 0               ; matmul.py:40:39
	s_and_b32 s0, s0, vcc_lo
	.loc	1 41 21 is_stmt 1               ; matmul.py:41:21
	s_and_saveexec_b32 s1, s0
	s_cbranch_execz .LBB0_125
; %bb.124:
	.loc	1 39 33                         ; matmul.py:39:33
	v_mul_lo_u32 v12, s2, v12
	s_delay_alu instid0(VALU_DEP_1) | instskip(NEXT) | instid1(VALU_DEP_1)
	.loc	1 39 21 is_stmt 0               ; matmul.py:39:21
	v_ashrrev_i32_e32 v13, 31, v12
	v_lshlrev_b64 v[12:13], 2, v[12:13]
	s_delay_alu instid0(VALU_DEP_1) | instskip(NEXT) | instid1(VALU_DEP_1)
	v_add_co_u32 v12, s0, s8, v12
	v_add_co_ci_u32_e64 v13, null, s9, v13, s0
	s_delay_alu instid0(VALU_DEP_2) | instskip(NEXT) | instid1(VALU_DEP_1)
	.loc	1 39 52                         ; matmul.py:39:52
	v_add_co_u32 v12, s0, v12, v32
	v_add_co_ci_u32_e64 v13, null, v13, v33, s0
	.loc	1 41 21 is_stmt 1               ; matmul.py:41:21
	s_waitcnt lgkmcnt(2)
	global_store_b32 v[12:13], v8, off
.LBB0_125:
	.loc	1 0 21 is_stmt 0                ; matmul.py:0:21
	s_or_b32 exec_lo, exec_lo, s1
	.loc	1 22 38 is_stmt 1               ; matmul.py:22:38
	s_waitcnt lgkmcnt(2)
	;; [unrolled: 60-line block ×4, first 2 shown]
	v_or_b32_e32 v0, 30, v34
	s_delay_alu instid0(VALU_DEP_1) | instskip(SKIP_1) | instid1(SALU_CYCLE_1)
	.loc	1 40 33                         ; matmul.py:40:33
	v_cmp_gt_i32_e64 s0, s4, v0
	.loc	1 40 39 is_stmt 0               ; matmul.py:40:39
	s_and_b32 s0, s0, vcc_lo
	.loc	1 41 21 is_stmt 1               ; matmul.py:41:21
	s_and_saveexec_b32 s1, s0
	s_cbranch_execz .LBB0_135
; %bb.134:
	.loc	1 39 33                         ; matmul.py:39:33
	v_mul_lo_u32 v4, s2, v0
	s_delay_alu instid0(VALU_DEP_1) | instskip(NEXT) | instid1(VALU_DEP_1)
	.loc	1 39 21 is_stmt 0               ; matmul.py:39:21
	v_ashrrev_i32_e32 v5, 31, v4
	v_lshlrev_b64 v[4:5], 2, v[4:5]
	s_delay_alu instid0(VALU_DEP_1) | instskip(NEXT) | instid1(VALU_DEP_1)
	v_add_co_u32 v0, s0, s8, v4
	v_add_co_ci_u32_e64 v5, null, s9, v5, s0
	s_delay_alu instid0(VALU_DEP_2) | instskip(NEXT) | instid1(VALU_DEP_1)
	.loc	1 39 52                         ; matmul.py:39:52
	v_add_co_u32 v4, s0, v0, v32
	v_add_co_ci_u32_e64 v5, null, v5, v33, s0
	.loc	1 41 21 is_stmt 1               ; matmul.py:41:21
	global_store_b32 v[4:5], v1, off
.LBB0_135:
	.loc	1 0 21 is_stmt 0                ; matmul.py:0:21
	s_or_b32 exec_lo, exec_lo, s1
	.loc	1 22 38 is_stmt 1               ; matmul.py:22:38
	v_or_b32_e32 v0, 32, v34
	s_delay_alu instid0(VALU_DEP_1) | instskip(SKIP_1) | instid1(SALU_CYCLE_1)
	.loc	1 40 33                         ; matmul.py:40:33
	v_cmp_gt_i32_e64 s0, s4, v0
	.loc	1 40 39 is_stmt 0               ; matmul.py:40:39
	s_and_b32 s0, s0, vcc_lo
	.loc	1 41 21 is_stmt 1               ; matmul.py:41:21
	s_and_saveexec_b32 s1, s0
	s_cbranch_execz .LBB0_137
; %bb.136:
	.loc	1 39 33                         ; matmul.py:39:33
	v_mul_lo_u32 v0, s2, v0
	s_delay_alu instid0(VALU_DEP_1) | instskip(NEXT) | instid1(VALU_DEP_1)
	.loc	1 39 21 is_stmt 0               ; matmul.py:39:21
	v_ashrrev_i32_e32 v1, 31, v0
	v_lshlrev_b64 v[0:1], 2, v[0:1]
	s_delay_alu instid0(VALU_DEP_1) | instskip(NEXT) | instid1(VALU_DEP_1)
	v_add_co_u32 v0, s0, s8, v0
	v_add_co_ci_u32_e64 v1, null, s9, v1, s0
	s_delay_alu instid0(VALU_DEP_2) | instskip(NEXT) | instid1(VALU_DEP_1)
	.loc	1 39 52                         ; matmul.py:39:52
	v_add_co_u32 v0, s0, v0, v32
	v_add_co_ci_u32_e64 v1, null, v1, v33, s0
	.loc	1 41 21 is_stmt 1               ; matmul.py:41:21
	global_store_b32 v[0:1], v30, off
.LBB0_137:
	.loc	1 0 21 is_stmt 0                ; matmul.py:0:21
	s_or_b32 exec_lo, exec_lo, s1
	.loc	1 22 38 is_stmt 1               ; matmul.py:22:38
	;; [unrolled: 29-line block ×16, first 2 shown]
	v_or_b32_e32 v0, 62, v34
	s_delay_alu instid0(VALU_DEP_1) | instskip(SKIP_1) | instid1(SALU_CYCLE_1)
	.loc	1 40 33                         ; matmul.py:40:33
	v_cmp_gt_i32_e64 s0, s4, v0
	.loc	1 40 39 is_stmt 0               ; matmul.py:40:39
	s_and_b32 s0, s0, vcc_lo
	.loc	1 41 21 is_stmt 1               ; matmul.py:41:21
	s_and_saveexec_b32 s1, s0
	s_cbranch_execz .LBB0_167
; %bb.166:
	.loc	1 39 33                         ; matmul.py:39:33
	v_mul_lo_u32 v0, s2, v0
	s_delay_alu instid0(VALU_DEP_1) | instskip(NEXT) | instid1(VALU_DEP_1)
	.loc	1 39 21 is_stmt 0               ; matmul.py:39:21
	v_ashrrev_i32_e32 v1, 31, v0
	v_lshlrev_b64 v[0:1], 2, v[0:1]
	s_delay_alu instid0(VALU_DEP_1) | instskip(NEXT) | instid1(VALU_DEP_1)
	v_add_co_u32 v0, vcc_lo, s8, v0
	v_add_co_ci_u32_e64 v1, null, s9, v1, vcc_lo
	s_delay_alu instid0(VALU_DEP_2) | instskip(NEXT) | instid1(VALU_DEP_1)
	.loc	1 39 52                         ; matmul.py:39:52
	v_add_co_u32 v0, vcc_lo, v0, v32
	v_add_co_ci_u32_e64 v1, null, v1, v33, vcc_lo
	.loc	1 41 21 is_stmt 1               ; matmul.py:41:21
	global_store_b32 v[0:1], v3, off
.LBB0_167:
	.loc	1 41 4 is_stmt 0                ; matmul.py:41:4
	s_nop 0
	s_sendmsg sendmsg(MSG_DEALLOC_VGPRS)
	s_endpgm
.Ltmp18:
	.section	.rodata,"a",@progbits
	.p2align	6, 0x0
	.amdhsa_kernel matmul_kernel
		.amdhsa_group_segment_fixed_size 0
		.amdhsa_private_segment_fixed_size 120
		.amdhsa_kernarg_size 80
		.amdhsa_user_sgpr_count 15
		.amdhsa_user_sgpr_dispatch_ptr 0
		.amdhsa_user_sgpr_queue_ptr 0
		.amdhsa_user_sgpr_kernarg_segment_ptr 1
		.amdhsa_user_sgpr_dispatch_id 0
		.amdhsa_user_sgpr_private_segment_size 0
		.amdhsa_wavefront_size32 1
		.amdhsa_uses_dynamic_stack 0
		.amdhsa_enable_private_segment 1
		.amdhsa_system_sgpr_workgroup_id_x 1
		.amdhsa_system_sgpr_workgroup_id_y 0
		.amdhsa_system_sgpr_workgroup_id_z 0
		.amdhsa_system_sgpr_workgroup_info 0
		.amdhsa_system_vgpr_workitem_id 0
		.amdhsa_next_free_vgpr 256
		.amdhsa_next_free_sgpr 24
		.amdhsa_reserve_vcc 1
		.amdhsa_float_round_mode_32 0
		.amdhsa_float_round_mode_16_64 0
		.amdhsa_float_denorm_mode_32 3
		.amdhsa_float_denorm_mode_16_64 3
		.amdhsa_dx10_clamp 1
		.amdhsa_ieee_mode 1
		.amdhsa_fp16_overflow 0
		.amdhsa_workgroup_processor_mode 1
		.amdhsa_memory_ordered 1
		.amdhsa_forward_progress 1
		.amdhsa_shared_vgpr_count 0
		.amdhsa_inst_pref_size 63
		.amdhsa_exception_fp_ieee_invalid_op 0
		.amdhsa_exception_fp_denorm_src 0
		.amdhsa_exception_fp_ieee_div_zero 0
		.amdhsa_exception_fp_ieee_overflow 0
		.amdhsa_exception_fp_ieee_underflow 0
		.amdhsa_exception_fp_ieee_inexact 0
		.amdhsa_exception_int_div_zero 0
	.end_amdhsa_kernel
	.text
.Lfunc_end0:
	.size	matmul_kernel, .Lfunc_end0-matmul_kernel
	.cfi_endproc
                                        ; -- End function
	.set matmul_kernel.num_vgpr, 256
	.set matmul_kernel.num_agpr, 0
	.set matmul_kernel.numbered_sgpr, 24
	.set matmul_kernel.num_named_barrier, 0
	.set matmul_kernel.private_seg_size, 120
	.set matmul_kernel.uses_vcc, 1
	.set matmul_kernel.uses_flat_scratch, 1
	.set matmul_kernel.has_dyn_sized_stack, 0
	.set matmul_kernel.has_recursion, 0
	.set matmul_kernel.has_indirect_call, 0
	.section	.AMDGPU.csdata,"",@progbits
; Kernel info:
; codeLenInByte = 17212
; TotalNumSgprs: 26
; NumVgprs: 256
; ScratchSize: 120
; MemoryBound: 0
; FloatMode: 240
; IeeeMode: 1
; LDSByteSize: 0 bytes/workgroup (compile time only)
; SGPRBlocks: 0
; VGPRBlocks: 31
; NumSGPRsForWavesPerEU: 26
; NumVGPRsForWavesPerEU: 256
; Occupancy: 5
; WaveLimiterHint : 0
; COMPUTE_PGM_RSRC2:SCRATCH_EN: 1
; COMPUTE_PGM_RSRC2:USER_SGPR: 15
; COMPUTE_PGM_RSRC2:TRAP_HANDLER: 0
; COMPUTE_PGM_RSRC2:TGID_X_EN: 1
; COMPUTE_PGM_RSRC2:TGID_Y_EN: 0
; COMPUTE_PGM_RSRC2:TGID_Z_EN: 0
; COMPUTE_PGM_RSRC2:TIDIG_COMP_CNT: 0
	.text
	.p2alignl 7, 3214868480
	.fill 96, 4, 3214868480
	.section	.AMDGPU.gpr_maximums,"",@progbits
	.set amdgpu.max_num_vgpr, 0
	.set amdgpu.max_num_agpr, 0
	.set amdgpu.max_num_sgpr, 0
	.set amdgpu.max_num_named_barrier, 0
	.text
	.section	.debug_abbrev,"",@progbits
	.byte	1                               ; Abbreviation Code
	.byte	17                              ; DW_TAG_compile_unit
	.byte	1                               ; DW_CHILDREN_yes
	.byte	37                              ; DW_AT_producer
	.byte	14                              ; DW_FORM_strp
	.byte	19                              ; DW_AT_language
	.byte	5                               ; DW_FORM_data2
	.byte	3                               ; DW_AT_name
	.byte	14                              ; DW_FORM_strp
	.byte	16                              ; DW_AT_stmt_list
	.byte	23                              ; DW_FORM_sec_offset
	.byte	27                              ; DW_AT_comp_dir
	.byte	14                              ; DW_FORM_strp
	.byte	17                              ; DW_AT_low_pc
	.byte	1                               ; DW_FORM_addr
	.byte	18                              ; DW_AT_high_pc
	.byte	6                               ; DW_FORM_data4
	.byte	0                               ; EOM(1)
	.byte	0                               ; EOM(2)
	.byte	2                               ; Abbreviation Code
	.byte	46                              ; DW_TAG_subprogram
	.byte	0                               ; DW_CHILDREN_no
	.byte	3                               ; DW_AT_name
	.byte	14                              ; DW_FORM_strp
	.byte	32                              ; DW_AT_inline
	.byte	11                              ; DW_FORM_data1
	.byte	0                               ; EOM(1)
	.byte	0                               ; EOM(2)
	.byte	3                               ; Abbreviation Code
	.byte	46                              ; DW_TAG_subprogram
	.byte	1                               ; DW_CHILDREN_yes
	.byte	17                              ; DW_AT_low_pc
	.byte	1                               ; DW_FORM_addr
	.byte	18                              ; DW_AT_high_pc
	.byte	6                               ; DW_FORM_data4
	.byte	49                              ; DW_AT_abstract_origin
	.byte	19                              ; DW_FORM_ref4
	.byte	0                               ; EOM(1)
	.byte	0                               ; EOM(2)
	.byte	4                               ; Abbreviation Code
	.byte	29                              ; DW_TAG_inlined_subroutine
	.byte	0                               ; DW_CHILDREN_no
	.byte	49                              ; DW_AT_abstract_origin
	.byte	19                              ; DW_FORM_ref4
	.byte	85                              ; DW_AT_ranges
	.byte	23                              ; DW_FORM_sec_offset
	.byte	88                              ; DW_AT_call_file
	.byte	11                              ; DW_FORM_data1
	.byte	89                              ; DW_AT_call_line
	.byte	11                              ; DW_FORM_data1
	.byte	87                              ; DW_AT_call_column
	.byte	11                              ; DW_FORM_data1
	.byte	0                               ; EOM(1)
	.byte	0                               ; EOM(2)
	;; [unrolled: 1-line block ×3, first 2 shown]
	.section	.debug_info,"",@progbits
.Lcu_begin0:
	.long	.Ldebug_info_end0-.Ldebug_info_start0 ; Length of Unit
.Ldebug_info_start0:
	.short	4                               ; DWARF version number
	.long	.debug_abbrev                   ; Offset Into Abbrev. Section
	.byte	8                               ; Address Size (in bytes)
	.byte	1                               ; Abbrev [1] 0xb:0x5c DW_TAG_compile_unit
	.long	.Linfo_string0                  ; DW_AT_producer
	.short	2                               ; DW_AT_language
	.long	.Linfo_string1                  ; DW_AT_name
	.long	.Lline_table_start0             ; DW_AT_stmt_list
	.long	.Linfo_string2                  ; DW_AT_comp_dir
	.quad	.Lfunc_begin0                   ; DW_AT_low_pc
	.long	.Lfunc_end0-.Lfunc_begin0       ; DW_AT_high_pc
	.byte	2                               ; Abbrev [2] 0x2a:0x6 DW_TAG_subprogram
	.long	.Linfo_string3                  ; DW_AT_name
	.byte	1                               ; DW_AT_inline
	.byte	3                               ; Abbrev [3] 0x30:0x36 DW_TAG_subprogram
	.quad	.Lfunc_begin0                   ; DW_AT_low_pc
	.long	.Lfunc_end0-.Lfunc_begin0       ; DW_AT_high_pc
	.long	42                              ; DW_AT_abstract_origin
	.byte	4                               ; Abbrev [4] 0x41:0xc DW_TAG_inlined_subroutine
	.long	42                              ; DW_AT_abstract_origin
	.long	.Ldebug_ranges0                 ; DW_AT_ranges
	.byte	1                               ; DW_AT_call_file
	.byte	14                              ; DW_AT_call_line
	.byte	27                              ; DW_AT_call_column
	.byte	4                               ; Abbrev [4] 0x4d:0xc DW_TAG_inlined_subroutine
	.long	42                              ; DW_AT_abstract_origin
	.long	.Ldebug_ranges1                 ; DW_AT_ranges
	.byte	1                               ; DW_AT_call_file
	.byte	13                              ; DW_AT_call_line
	.byte	27                              ; DW_AT_call_column
	;; [unrolled: 6-line block ×3, first 2 shown]
	.byte	0                               ; End Of Children Mark
	.byte	0                               ; End Of Children Mark
.Ldebug_info_end0:
	.section	.debug_ranges,"",@progbits
.Ldebug_ranges0:
	.quad	.Ltmp1-.Lfunc_begin0
	.quad	.Ltmp2-.Lfunc_begin0
	;; [unrolled: 1-line block ×10, first 2 shown]
	.quad	0
	.quad	0
.Ldebug_ranges1:
	.quad	.Ltmp2-.Lfunc_begin0
	.quad	.Ltmp3-.Lfunc_begin0
	;; [unrolled: 1-line block ×10, first 2 shown]
	.quad	0
	.quad	0
.Ldebug_ranges2:
	.quad	.Ltmp12-.Lfunc_begin0
	.quad	.Ltmp13-.Lfunc_begin0
	;; [unrolled: 1-line block ×6, first 2 shown]
	.quad	0
	.quad	0
	.section	.debug_str,"MS",@progbits,1
.Linfo_string0:
	.asciz	"triton"                        ; string offset=0
.Linfo_string1:
	.asciz	"matmul.py"                     ; string offset=7
.Linfo_string2:
	.asciz	"/root/src/amdgpu-assembly/repos/triton-lang__triton-aot" ; string offset=17
.Linfo_string3:
	.asciz	"matmul_kernel"                 ; string offset=73
	.section	".note.GNU-stack","",@progbits
	.amdgpu_metadata
---
amdhsa.kernels:
  - .args:
      - .address_space:  global
        .offset:         0
        .size:           8
        .value_kind:     global_buffer
      - .address_space:  global
        .offset:         8
        .size:           8
        .value_kind:     global_buffer
      - .address_space:  global
        .offset:         16
        .size:           8
        .value_kind:     global_buffer
      - .offset:         24
        .size:           4
        .value_kind:     by_value
      - .offset:         28
        .size:           4
        .value_kind:     by_value
      - .offset:         32
        .size:           4
        .value_kind:     by_value
      - .offset:         36
        .size:           4
        .value_kind:     by_value
      - .offset:         40
        .size:           4
        .value_kind:     by_value
      - .offset:         44
        .size:           4
        .value_kind:     by_value
      - .offset:         48
        .size:           4
        .value_kind:     by_value
      - .offset:         52
        .size:           4
        .value_kind:     by_value
      - .offset:         56
        .size:           4
        .value_kind:     by_value
      - .address_space:  global
        .offset:         64
        .size:           8
        .value_kind:     global_buffer
      - .address_space:  global
        .offset:         72
        .size:           8
        .value_kind:     global_buffer
    .group_segment_fixed_size: 0
    .kernarg_segment_align: 8
    .kernarg_segment_size: 80
    .max_flat_workgroup_size: 128
    .name:           matmul_kernel
    .private_segment_fixed_size: 120
    .sgpr_count:     26
    .sgpr_spill_count: 0
    .symbol:         matmul_kernel.kd
    .uniform_work_group_size: 1
    .uses_dynamic_stack: false
    .vgpr_count:     256
    .vgpr_spill_count: 29
    .wavefront_size: 32
    .workgroup_processor_mode: 1
amdhsa.target:   amdgcn-amd-amdhsa--gfx1100
amdhsa.version:
  - 1
  - 2
...

	.end_amdgpu_metadata
	.section	.debug_line,"",@progbits
.Lline_table_start0:
